;; amdgpu-corpus repo=ROCm/rocFFT kind=compiled arch=gfx1201 opt=O3
	.text
	.amdgcn_target "amdgcn-amd-amdhsa--gfx1201"
	.amdhsa_code_object_version 6
	.protected	bluestein_single_fwd_len748_dim1_half_op_CI_CI ; -- Begin function bluestein_single_fwd_len748_dim1_half_op_CI_CI
	.globl	bluestein_single_fwd_len748_dim1_half_op_CI_CI
	.p2align	8
	.type	bluestein_single_fwd_len748_dim1_half_op_CI_CI,@function
bluestein_single_fwd_len748_dim1_half_op_CI_CI: ; @bluestein_single_fwd_len748_dim1_half_op_CI_CI
; %bb.0:
	s_load_b128 s[4:7], s[0:1], 0x28
	v_mul_u32_u24_e32 v1, 0x3c4, v0
	s_mov_b32 s2, exec_lo
	s_delay_alu instid0(VALU_DEP_1) | instskip(NEXT) | instid1(VALU_DEP_1)
	v_lshrrev_b32_e32 v1, 16, v1
	v_mad_co_u64_u32 v[17:18], null, ttmp9, 3, v[1:2]
	v_mov_b32_e32 v18, 0
                                        ; kill: def $vgpr2 killed $sgpr0 killed $exec
	s_wait_kmcnt 0x0
	s_delay_alu instid0(VALU_DEP_1)
	v_cmpx_gt_u64_e64 s[4:5], v[17:18]
	s_cbranch_execz .LBB0_23
; %bb.1:
	v_mul_hi_u32 v2, 0xaaaaaaab, v17
	v_mul_lo_u16 v1, 0x44, v1
	s_clause 0x1
	s_load_b64 s[12:13], s[0:1], 0x0
	s_load_b64 s[14:15], s[0:1], 0x38
	s_delay_alu instid0(VALU_DEP_1) | instskip(NEXT) | instid1(VALU_DEP_3)
	v_sub_nc_u16 v0, v0, v1
	v_lshrrev_b32_e32 v2, 1, v2
	s_delay_alu instid0(VALU_DEP_2) | instskip(SKIP_1) | instid1(VALU_DEP_3)
	v_and_b32_e32 v40, 0xffff, v0
	v_cmp_gt_u16_e32 vcc_lo, 44, v0
	v_lshl_add_u32 v2, v2, 1, v2
	s_delay_alu instid0(VALU_DEP_3) | instskip(SKIP_1) | instid1(VALU_DEP_3)
	v_lshlrev_b32_e32 v39, 2, v40
	v_or_b32_e32 v38, 0x2c0, v40
	v_sub_nc_u32_e32 v1, v17, v2
	s_delay_alu instid0(VALU_DEP_1) | instskip(NEXT) | instid1(VALU_DEP_1)
	v_mul_u32_u24_e32 v28, 0x2ec, v1
	v_lshlrev_b32_e32 v41, 2, v28
	s_and_saveexec_b32 s3, vcc_lo
	s_cbranch_execz .LBB0_3
; %bb.2:
	s_load_b64 s[4:5], s[0:1], 0x18
	s_wait_kmcnt 0x0
	s_load_b128 s[8:11], s[4:5], 0x0
	s_clause 0x7
	global_load_b32 v10, v39, s[12:13]
	global_load_b32 v11, v39, s[12:13] offset:176
	global_load_b32 v12, v39, s[12:13] offset:352
	;; [unrolled: 1-line block ×7, first 2 shown]
	s_wait_kmcnt 0x0
	v_mad_co_u64_u32 v[0:1], null, s10, v17, 0
	v_mad_co_u64_u32 v[2:3], null, s8, v40, 0
	;; [unrolled: 1-line block ×3, first 2 shown]
	s_mul_u64 s[4:5], s[8:9], 0xb0
	s_delay_alu instid0(VALU_DEP_2) | instskip(NEXT) | instid1(VALU_DEP_2)
	v_mad_co_u64_u32 v[6:7], null, s11, v17, v[1:2]
	v_mad_co_u64_u32 v[7:8], null, s9, v40, v[3:4]
	s_delay_alu instid0(VALU_DEP_2) | instskip(SKIP_1) | instid1(VALU_DEP_3)
	v_mad_co_u64_u32 v[8:9], null, s9, v38, v[5:6]
	v_mov_b32_e32 v1, v6
	v_mov_b32_e32 v3, v7
	s_clause 0x8
	global_load_b32 v6, v39, s[12:13] offset:1408
	global_load_b32 v9, v39, s[12:13] offset:1584
	;; [unrolled: 1-line block ×9, first 2 shown]
	v_lshlrev_b64_e32 v[0:1], 2, v[0:1]
	v_mov_b32_e32 v5, v8
	v_lshlrev_b64_e32 v[2:3], 2, v[2:3]
	s_delay_alu instid0(VALU_DEP_3) | instskip(NEXT) | instid1(VALU_DEP_1)
	v_add_co_u32 v8, s2, s6, v0
	v_add_co_ci_u32_e64 v25, s2, s7, v1, s2
	s_delay_alu instid0(VALU_DEP_4) | instskip(NEXT) | instid1(VALU_DEP_3)
	v_lshlrev_b64_e32 v[0:1], 2, v[4:5]
	v_add_co_u32 v2, s2, v8, v2
	s_wait_alu 0xf1ff
	s_delay_alu instid0(VALU_DEP_3) | instskip(NEXT) | instid1(VALU_DEP_3)
	v_add_co_ci_u32_e64 v3, s2, v25, v3, s2
	v_add_co_u32 v0, s2, v8, v0
	s_wait_alu 0xf1ff
	v_add_co_ci_u32_e64 v1, s2, v25, v1, s2
	s_clause 0x1
	global_load_b32 v4, v[2:3], off
	global_load_b32 v5, v[0:1], off
	s_wait_alu 0xfffe
	v_add_co_u32 v2, s2, v2, s4
	s_wait_alu 0xf1ff
	v_add_co_ci_u32_e64 v3, s2, s5, v3, s2
	s_delay_alu instid0(VALU_DEP_2) | instskip(SKIP_1) | instid1(VALU_DEP_2)
	v_add_co_u32 v0, s2, v2, s4
	s_wait_alu 0xf1ff
	v_add_co_ci_u32_e64 v1, s2, s5, v3, s2
	s_clause 0x1
	global_load_b32 v8, v[2:3], off
	global_load_b32 v25, v[0:1], off
	v_add_co_u32 v0, s2, v0, s4
	s_wait_alu 0xf1ff
	v_add_co_ci_u32_e64 v1, s2, s5, v1, s2
	s_delay_alu instid0(VALU_DEP_2) | instskip(SKIP_1) | instid1(VALU_DEP_2)
	v_add_co_u32 v2, s2, v0, s4
	s_wait_alu 0xf1ff
	v_add_co_ci_u32_e64 v3, s2, s5, v1, s2
	s_clause 0x1
	global_load_b32 v26, v[0:1], off
	global_load_b32 v27, v[2:3], off
	v_add_co_u32 v0, s2, v2, s4
	s_wait_alu 0xf1ff
	v_add_co_ci_u32_e64 v1, s2, s5, v3, s2
	s_delay_alu instid0(VALU_DEP_2) | instskip(SKIP_1) | instid1(VALU_DEP_2)
	v_add_co_u32 v2, s2, v0, s4
	s_wait_alu 0xf1ff
	v_add_co_ci_u32_e64 v3, s2, s5, v1, s2
	global_load_b32 v29, v[0:1], off
	v_add_co_u32 v0, s2, v2, s4
	s_wait_alu 0xf1ff
	v_add_co_ci_u32_e64 v1, s2, s5, v3, s2
	global_load_b32 v30, v[2:3], off
	global_load_b32 v31, v[0:1], off
	v_add_co_u32 v0, s2, v0, s4
	s_wait_alu 0xf1ff
	v_add_co_ci_u32_e64 v1, s2, s5, v1, s2
	s_delay_alu instid0(VALU_DEP_2) | instskip(SKIP_1) | instid1(VALU_DEP_2)
	v_add_co_u32 v2, s2, v0, s4
	s_wait_alu 0xf1ff
	v_add_co_ci_u32_e64 v3, s2, s5, v1, s2
	global_load_b32 v32, v[0:1], off
	v_add_co_u32 v0, s2, v2, s4
	s_wait_alu 0xf1ff
	v_add_co_ci_u32_e64 v1, s2, s5, v3, s2
	;; [unrolled: 13-line block ×3, first 2 shown]
	global_load_b32 v36, v[2:3], off
	v_add_co_u32 v2, s2, v0, s4
	s_wait_alu 0xf1ff
	v_add_co_ci_u32_e64 v3, s2, s5, v1, s2
	global_load_b32 v37, v[0:1], off
	v_add_co_u32 v0, s2, v2, s4
	s_wait_alu 0xf1ff
	v_add_co_ci_u32_e64 v1, s2, s5, v3, s2
	global_load_b32 v2, v[2:3], off
	global_load_b32 v0, v[0:1], off
	v_lshl_add_u32 v3, v40, 2, v41
	v_add_nc_u32_e32 v1, v41, v39
	s_delay_alu instid0(VALU_DEP_1)
	v_add_nc_u32_e32 v42, 0x200, v1
	v_add_nc_u32_e32 v43, 0x400, v1
	;; [unrolled: 1-line block ×4, first 2 shown]
	s_wait_loadcnt 0x21
	v_lshrrev_b32_e32 v46, 16, v10
	s_wait_loadcnt 0x20
	v_lshrrev_b32_e32 v47, 16, v11
	;; [unrolled: 2-line block ×18, first 2 shown]
	v_mul_f16_e32 v63, v46, v4
	s_wait_loadcnt 0xf
	v_lshrrev_b32_e32 v65, 16, v5
	v_mul_f16_e32 v66, v61, v5
	v_mul_f16_e32 v46, v46, v62
	v_fma_f16 v62, v10, v62, -v63
	s_delay_alu instid0(VALU_DEP_4) | instskip(NEXT) | instid1(VALU_DEP_4)
	v_mul_f16_e32 v61, v61, v65
	v_fma_f16 v65, v7, v65, -v66
	s_delay_alu instid0(VALU_DEP_4) | instskip(NEXT) | instid1(VALU_DEP_3)
	v_fmac_f16_e32 v46, v10, v4
	v_fmac_f16_e32 v61, v7, v5
	s_wait_loadcnt 0xe
	v_lshrrev_b32_e32 v63, 16, v8
	v_mul_f16_e32 v67, v47, v8
	v_pack_b32_f16 v5, v46, v62
	s_delay_alu instid0(VALU_DEP_3)
	v_mul_f16_e32 v4, v47, v63
	s_wait_loadcnt 0xd
	v_lshrrev_b32_e32 v47, 16, v25
	v_fma_f16 v10, v11, v63, -v67
	v_mul_f16_e32 v63, v48, v25
	ds_store_b32 v3, v5
	v_fmac_f16_e32 v4, v11, v8
	v_mul_f16_e32 v7, v48, v47
	s_wait_loadcnt 0xc
	v_lshrrev_b32_e32 v11, 16, v26
	v_fma_f16 v8, v12, v47, -v63
	v_mul_f16_e32 v46, v49, v26
	v_pack_b32_f16 v3, v4, v10
	v_fmac_f16_e32 v7, v12, v25
	v_mul_f16_e32 v4, v49, v11
	s_wait_loadcnt 0xb
	v_lshrrev_b32_e32 v5, 16, v27
	v_mul_f16_e32 v10, v50, v27
	v_fma_f16 v11, v13, v11, -v46
	v_pack_b32_f16 v7, v7, v8
	v_fmac_f16_e32 v4, v13, v26
	v_mul_f16_e32 v8, v50, v5
	v_fma_f16 v5, v14, v5, -v10
	s_wait_loadcnt 0xa
	v_lshrrev_b32_e32 v10, 16, v29
	v_mul_f16_e32 v12, v51, v29
	ds_store_2addr_b32 v1, v3, v7 offset0:44 offset1:88
	v_pack_b32_f16 v3, v4, v11
	v_fmac_f16_e32 v8, v14, v27
	v_mul_f16_e32 v4, v51, v10
	s_wait_loadcnt 0x9
	v_lshrrev_b32_e32 v7, 16, v30
	v_mul_f16_e32 v11, v52, v30
	v_fma_f16 v10, v15, v10, -v12
	v_pack_b32_f16 v5, v8, v5
	v_fmac_f16_e32 v4, v15, v29
	v_mul_f16_e32 v8, v52, v7
	v_fma_f16 v7, v16, v7, -v11
	s_wait_loadcnt 0x8
	v_lshrrev_b32_e32 v11, 16, v31
	v_mul_f16_e32 v12, v53, v31
	ds_store_2addr_b32 v1, v3, v5 offset0:132 offset1:176
	;; [unrolled: 15-line block ×4, first 2 shown]
	v_pack_b32_f16 v1, v3, v5
	v_fmac_f16_e32 v8, v19, v34
	s_wait_loadcnt 0x3
	v_lshrrev_b32_e32 v3, 16, v36
	v_mul_f16_e32 v4, v57, v7
	v_fma_f16 v5, v20, v7, -v9
	v_mul_f16_e32 v7, v58, v36
	v_pack_b32_f16 v6, v8, v6
	v_mul_f16_e32 v8, v58, v3
	s_wait_loadcnt 0x2
	v_lshrrev_b32_e32 v9, 16, v37
	s_wait_loadcnt 0x1
	v_lshrrev_b32_e32 v10, 16, v2
	v_fma_f16 v3, v21, v3, -v7
	v_mul_f16_e32 v7, v59, v37
	s_wait_loadcnt 0x0
	v_lshrrev_b32_e32 v12, 16, v0
	v_mul_f16_e32 v11, v59, v9
	v_mul_f16_e32 v13, v60, v10
	;; [unrolled: 1-line block ×3, first 2 shown]
	v_fma_f16 v7, v22, v9, -v7
	v_mul_f16_e32 v9, v60, v2
	v_mul_f16_e32 v15, v64, v12
	v_fmac_f16_e32 v4, v20, v35
	v_fmac_f16_e32 v8, v21, v36
	;; [unrolled: 1-line block ×3, first 2 shown]
	v_fma_f16 v9, v23, v10, -v9
	v_fmac_f16_e32 v13, v23, v2
	v_fma_f16 v2, v24, v12, -v14
	v_fmac_f16_e32 v15, v24, v0
	v_pack_b32_f16 v0, v4, v5
	v_pack_b32_f16 v3, v8, v3
	;; [unrolled: 1-line block ×6, first 2 shown]
	ds_store_2addr_b32 v43, v1, v6 offset0:140 offset1:184
	ds_store_2addr_b32 v44, v0, v3 offset0:100 offset1:144
	;; [unrolled: 1-line block ×4, first 2 shown]
.LBB0_3:
	s_or_b32 exec_lo, exec_lo, s3
	v_mov_b32_e32 v4, 0
	global_wb scope:SCOPE_SE
	s_wait_dscnt 0x0
	s_wait_kmcnt 0x0
	s_barrier_signal -1
	s_barrier_wait -1
	global_inv scope:SCOPE_SE
                                        ; implicit-def: $vgpr9
                                        ; implicit-def: $vgpr6
                                        ; implicit-def: $vgpr11
                                        ; implicit-def: $vgpr2
                                        ; implicit-def: $vgpr13
                                        ; implicit-def: $vgpr0
                                        ; implicit-def: $vgpr15
                                        ; implicit-def: $vgpr16
	s_and_saveexec_b32 s2, vcc_lo
	s_cbranch_execz .LBB0_5
; %bb.4:
	v_lshl_add_u32 v16, v28, 2, v39
	ds_load_2addr_b32 v[4:5], v16 offset1:44
	ds_load_2addr_b32 v[14:15], v16 offset0:88 offset1:132
	v_add_nc_u32_e32 v0, 0x400, v16
	v_add_nc_u32_e32 v1, 0x800, v16
	ds_load_2addr_b32 v[12:13], v16 offset0:176 offset1:220
	ds_load_2addr_b32 v[10:11], v0 offset0:8 offset1:52
	ds_load_2addr_b32 v[8:9], v0 offset0:96 offset1:140
	ds_load_2addr_b32 v[6:7], v0 offset0:184 offset1:228
	ds_load_2addr_b32 v[2:3], v1 offset0:16 offset1:60
	ds_load_2addr_b32 v[0:1], v1 offset0:104 offset1:148
	ds_load_b32 v16, v16 offset:2816
.LBB0_5:
	s_wait_alu 0xfffe
	s_or_b32 exec_lo, exec_lo, s2
	s_wait_dscnt 0x0
	v_pk_add_f16 v27, v5, v16 neg_lo:[0,1] neg_hi:[0,1]
	v_pk_add_f16 v44, v14, v1 neg_lo:[0,1] neg_hi:[0,1]
	v_pk_add_f16 v83, v16, v5
	v_pk_add_f16 v45, v15, v0 neg_lo:[0,1] neg_hi:[0,1]
	v_pk_add_f16 v66, v1, v14
	v_lshrrev_b32_e32 v93, 16, v27
	v_lshrrev_b32_e32 v90, 16, v44
	v_pk_add_f16 v46, v12, v3 neg_lo:[0,1] neg_hi:[0,1]
	v_lshrrev_b32_e32 v72, 16, v45
	v_pk_add_f16 v67, v0, v15
	v_mul_f16_e32 v22, 0xb5c8, v93
	v_mul_f16_e32 v32, 0xb964, v93
	;; [unrolled: 1-line block ×5, first 2 shown]
	v_fmamk_f16 v18, v83, 0x3b76, v22
	v_fmamk_f16 v19, v83, 0x39e9, v32
	;; [unrolled: 1-line block ×4, first 2 shown]
	v_mul_f16_e32 v31, 0xba62, v72
	v_lshrrev_b32_e32 v94, 16, v46
	v_pk_add_f16 v47, v13, v2 neg_lo:[0,1] neg_hi:[0,1]
	v_add_f16_e32 v18, v18, v4
	v_add_f16_e32 v19, v19, v4
	v_fmamk_f16 v59, v67, 0x3722, v30
	v_fmamk_f16 v77, v67, 0xb8d2, v31
	v_pk_add_f16 v68, v3, v12
	v_mul_f16_e32 v33, 0xbbf7, v94
	v_mul_f16_e32 v34, 0xb1e1, v94
	v_lshrrev_b32_e32 v78, 16, v47
	v_pk_add_f16 v42, v10, v7 neg_lo:[0,1] neg_hi:[0,1]
	v_add_f16_e32 v18, v54, v18
	v_add_f16_e32 v19, v57, v19
	v_mul_f16_e32 v35, 0xbb29, v93
	v_mul_f16_e32 v51, 0xbbf7, v93
	v_fmamk_f16 v79, v68, 0x2de8, v33
	v_fmamk_f16 v86, v68, 0xbbdd, v34
	v_pk_add_f16 v74, v2, v13
	v_mul_f16_e32 v36, 0xbbb2, v78
	v_mul_f16_e32 v43, 0x3836, v78
	v_lshrrev_b32_e32 v49, 16, v42
	v_pk_add_f16 v23, v11, v6 neg_lo:[0,1] neg_hi:[0,1]
	v_add_f16_e32 v18, v59, v18
	v_add_f16_e32 v19, v77, v19
	v_fmamk_f16 v20, v83, 0x3722, v35
	v_fmamk_f16 v21, v83, 0x2de8, v51
	v_mul_f16_e32 v48, 0xba62, v90
	v_mul_f16_e32 v52, 0xb1e1, v90
	v_fmamk_f16 v88, v74, 0xb461, v36
	v_fmamk_f16 v89, v74, 0xbacd, v43
	v_pk_add_f16 v69, v7, v10
	v_mul_f16_e32 v37, 0xba62, v49
	v_lshrrev_b32_e32 v115, 16, v23
	v_mul_f16_e32 v56, 0x3bb2, v49
	v_pk_add_f16 v81, v8, v9 neg_lo:[0,1] neg_hi:[0,1]
	v_add_f16_e32 v18, v79, v18
	v_add_f16_e32 v19, v86, v19
	v_mul_f16_e32 v60, 0xba62, v93
	v_fmamk_f16 v61, v66, 0xb8d2, v48
	v_fmamk_f16 v71, v66, 0xbbdd, v52
	v_mul_f16_e32 v50, 0x31e1, v72
	v_mul_f16_e32 v55, 0x3bb2, v72
	v_fmamk_f16 v96, v69, 0xb8d2, v37
	v_pk_add_f16 v84, v6, v11
	v_mul_f16_e32 v54, 0xb836, v115
	v_fmamk_f16 v97, v69, 0xb461, v56
	v_mul_f16_e32 v57, 0x3b29, v115
	v_lshrrev_b32_e32 v134, 16, v81
	v_add_f16_e32 v20, v20, v4
	v_add_f16_e32 v18, v88, v18
	;; [unrolled: 1-line block ×4, first 2 shown]
	v_mul_f16_e32 v65, 0xb836, v93
	v_fmamk_f16 v24, v83, 0xb8d2, v60
	v_mul_f16_e32 v62, 0x3bb2, v90
	v_fmamk_f16 v82, v67, 0xbbdd, v50
	v_fmamk_f16 v85, v67, 0xb461, v55
	v_mul_f16_e32 v53, 0x3bb2, v94
	v_mul_f16_e32 v58, 0x35c8, v94
	v_fmamk_f16 v77, v84, 0xbacd, v54
	v_pk_add_f16 v88, v9, v8
	v_mul_f16_e64 v59, 0xb1e1, v134
	v_add_f16_e32 v20, v61, v20
	v_fmamk_f16 v79, v84, 0x3722, v57
	v_add_f16_e32 v18, v96, v18
	v_mul_f16_e64 v61, 0x35c8, v134
	v_add_f16_e32 v19, v97, v19
	v_add_f16_e32 v21, v71, v21
	v_fmamk_f16 v25, v83, 0xbacd, v65
	v_mul_f16_e32 v70, 0x3b29, v90
	v_fmamk_f16 v76, v66, 0xb461, v62
	v_mul_f16_e32 v64, 0xb5c8, v72
	v_fmamk_f16 v87, v68, 0xb461, v53
	v_fmamk_f16 v95, v68, 0x3b76, v58
	v_mul_f16_e32 v63, 0x3964, v78
	v_fmamk_f16 v89, v88, 0xbbdd, v59
	v_add_f16_e32 v18, v77, v18
	v_fmamk_f16 v77, v88, 0x3b76, v61
	v_add_f16_e32 v79, v79, v19
	v_mul_f16_e32 v86, 0xbb29, v78
	v_add_f16_e32 v20, v82, v20
	v_add_f16_e32 v21, v85, v21
	;; [unrolled: 1-line block ×3, first 2 shown]
	v_fmamk_f16 v80, v66, 0x3722, v70
	v_fmamk_f16 v91, v67, 0x3b76, v64
	v_mul_f16_e32 v75, 0xbbf7, v72
	v_mul_f16_e32 v73, 0xb836, v94
	v_fmamk_f16 v71, v74, 0x39e9, v63
	v_add_f16_e32 v19, v89, v18
	v_add_f16_e32 v18, v77, v79
	v_fmamk_f16 v96, v74, 0x3722, v86
	v_mul_f16_e32 v79, 0xb5c8, v49
	v_mul_f16_e32 v89, 0xb836, v49
	v_add_f16_e32 v20, v87, v20
	v_add_f16_e32 v21, v95, v21
	;; [unrolled: 1-line block ×4, first 2 shown]
	v_fmamk_f16 v92, v67, 0x2de8, v75
	v_mul_f16_e32 v77, 0xbbf7, v115
	v_fmamk_f16 v82, v69, 0x3b76, v79
	v_fmamk_f16 v95, v69, 0xbacd, v89
	v_add_f16_e32 v20, v71, v20
	v_add_f16_e32 v21, v96, v21
	;; [unrolled: 1-line block ×3, first 2 shown]
	v_mul_f16_e32 v117, 0x3a62, v94
	v_add_f16_e32 v24, v91, v24
	v_fmamk_f16 v91, v68, 0xbacd, v73
	v_mul_f16_e32 v105, 0x3bf7, v78
	v_fmamk_f16 v76, v84, 0x2de8, v77
	v_mul_f16_e32 v87, 0x3a62, v115
	v_mul_f16_e64 v71, 0xb836, v134
	v_add_f16_e32 v20, v82, v20
	v_add_f16_e32 v21, v95, v21
	v_fmamk_f16 v95, v68, 0xb8d2, v117
	v_add_f16_e32 v25, v92, v25
	v_mul_f16_e32 v118, 0xb5c8, v78
	v_add_f16_e32 v24, v91, v24
	v_fmamk_f16 v91, v74, 0x2de8, v105
	v_mul_f16_e32 v103, 0xb964, v49
	v_mul_f16_e64 v85, 0x3964, v134
	v_fmamk_f16 v82, v84, 0xb8d2, v87
	v_fmamk_f16 v80, v88, 0xbacd, v71
	v_add_f16_e32 v20, v76, v20
	v_add_f16_e32 v25, v95, v25
	v_fmamk_f16 v92, v74, 0x3b76, v118
	v_add_f16_e32 v24, v91, v24
	v_fmamk_f16 v91, v69, 0x39e9, v103
	v_mul_f16_e32 v122, 0xb1e1, v49
	v_mul_f16_e32 v99, 0xb1e1, v115
	v_fmamk_f16 v76, v88, 0x39e9, v85
	v_add_f16_e32 v82, v82, v21
	v_add_f16_e32 v21, v80, v20
	;; [unrolled: 1-line block ×4, first 2 shown]
	v_fmamk_f16 v80, v69, 0xbbdd, v122
	v_fmamk_f16 v91, v84, 0xbbdd, v99
	v_mul_f16_e32 v119, 0x3964, v115
	v_mul_f16_e64 v100, 0x3b29, v134
	v_add_f16_e32 v20, v76, v82
	v_add_f16_e32 v25, v80, v25
	;; [unrolled: 1-line block ×3, first 2 shown]
	v_fmamk_f16 v80, v84, 0x39e9, v119
	v_fmamk_f16 v82, v88, 0x3722, v100
	v_lshrrev_b32_e32 v157, 16, v83
	v_mul_f16_e32 v76, 0xb5c8, v27
	v_mul_f16_e64 v121, 0xbbb2, v134
	v_add_f16_e32 v96, v80, v25
	v_add_f16_e32 v25, v82, v24
	v_mul_f16_e32 v91, 0xb964, v27
	v_fma_f16 v95, v157, 0x3b76, -v76
	v_lshrrev_b32_e32 v82, 16, v4
	v_fmamk_f16 v24, v88, 0xb461, v121
	v_lshrrev_b32_e32 v141, 16, v66
	v_mul_f16_e32 v80, 0xb964, v44
	v_fma_f16 v97, v157, 0x39e9, -v91
	v_mul_f16_e32 v92, 0xbbf7, v44
	v_add_f16_e32 v98, v95, v82
	v_mul_f16_e32 v95, 0xbb29, v27
	v_fma_f16 v101, v141, 0x39e9, -v80
	v_add_f16_e32 v97, v97, v82
	v_fma_f16 v102, v141, 0x2de8, -v92
	v_add_f16_e32 v24, v24, v96
	v_fma_f16 v96, v157, 0x3722, -v95
	v_mul_f16_e32 v106, 0xbbf7, v27
	v_add_f16_e32 v98, v101, v98
	v_add_f16_e32 v101, v102, v97
	v_mul_f16_e32 v111, 0xbbb2, v93
	v_add_f16_e32 v93, v96, v82
	v_mul_f16_e32 v96, 0xba62, v44
	v_fma_f16 v97, v157, 0x2de8, -v106
	v_mul_f16_e32 v108, 0xb1e1, v44
	v_fmamk_f16 v102, v83, 0xb461, v111
	v_mul_f16_e32 v112, 0x3836, v90
	v_fma_f16 v90, v141, 0xb8d2, -v96
	v_add_f16_e32 v97, v97, v82
	v_fma_f16 v104, v141, 0xbbdd, -v108
	v_mul_f16_e32 v125, 0xbbb2, v27
	v_mul_f16_e64 v139, 0xba62, v27
	v_add_f16_e32 v102, v102, v4
	v_fmamk_f16 v107, v66, 0xbacd, v112
	v_add_f16_e32 v93, v90, v93
	v_add_f16_e32 v109, v104, v97
	v_fma_f16 v90, v157, 0xb461, -v125
	v_mul_f16_e32 v126, 0x3836, v44
	v_fma_f16 v97, v157, 0xb8d2, -v139
	v_mul_f16_e64 v140, 0x3bb2, v44
	v_mul_f16_e64 v154, 0xb836, v27
	v_add_f16_e32 v102, v107, v102
	v_add_f16_e32 v90, v90, v82
	v_fma_f16 v104, v141, 0xbacd, -v126
	v_add_f16_e32 v97, v97, v82
	v_fma_f16 v107, v141, 0xb461, -v140
	v_fma_f16 v110, v157, 0xbacd, -v154
	v_mul_f16_e64 v155, 0x3b29, v44
	v_pk_mul_f16 v27, 0xb1e1, v27 op_sel_hi:[0,1]
	v_add_f16_e32 v113, v104, v90
	v_add_f16_e32 v107, v107, v97
	;; [unrolled: 1-line block ×3, first 2 shown]
	v_fma_f16 v110, v141, 0x3722, -v155
	v_pk_mul_f16 v44, 0x35c8, v44 op_sel_hi:[0,1]
	v_pk_fma_f16 v114, 0xbbdd, v83, v27 op_sel:[0,0,1] op_sel_hi:[0,1,0] neg_lo:[0,0,1] neg_hi:[0,0,1]
	v_lshrrev_b32_e32 v145, 16, v67
	v_mul_f16_e32 v90, 0xbb29, v45
	v_mul_f16_e32 v97, 0xba62, v45
	v_add_f16_e32 v110, v110, v104
	v_pk_add_f16 v114, v114, v4
	v_pk_fma_f16 v120, 0x3b76, v66, v44 op_sel:[0,0,1] op_sel_hi:[0,1,0] neg_lo:[0,0,1] neg_hi:[0,0,1]
	v_fma_f16 v123, v145, 0x3722, -v90
	v_fma_f16 v124, v145, 0xb8d2, -v97
	v_mul_f16_e32 v104, 0x31e1, v45
	v_mul_f16_e32 v116, 0x3bb2, v45
	v_pk_add_f16 v114, v120, v114
	v_add_f16_e32 v98, v123, v98
	v_add_f16_e32 v101, v124, v101
	v_fma_f16 v123, v145, 0xbbdd, -v104
	v_fma_f16 v124, v145, 0xb461, -v116
	v_mul_f16_e32 v120, 0x3964, v72
	v_mul_f16_e64 v147, 0xb5c8, v45
	v_mul_f16_e64 v132, 0x3964, v45
	v_add_f16_e32 v72, v123, v93
	v_add_f16_e32 v123, v124, v109
	v_fmamk_f16 v93, v67, 0x39e9, v120
	v_fma_f16 v124, v145, 0x3b76, -v147
	v_mul_f16_e64 v162, 0xbbf7, v45
	v_pk_mul_f16 v45, 0xb836, v45 op_sel_hi:[0,1]
	v_fma_f16 v109, v145, 0x39e9, -v132
	v_add_f16_e32 v127, v93, v102
	v_add_f16_e32 v107, v124, v107
	v_fma_f16 v124, v145, 0x2de8, -v162
	v_pk_fma_f16 v128, 0xbacd, v67, v45 op_sel:[0,0,1] op_sel_hi:[0,1,0] neg_lo:[0,0,1] neg_hi:[0,0,1]
	v_lshrrev_b32_e32 v146, 16, v68
	v_mul_f16_e32 v93, 0xbbf7, v46
	v_add_f16_e32 v113, v109, v113
	v_mul_f16_e32 v102, 0xb1e1, v46
	v_mul_f16_e32 v109, 0x3bb2, v46
	v_add_f16_e32 v110, v124, v110
	v_pk_add_f16 v129, v128, v114
	v_fma_f16 v114, v146, 0x2de8, -v93
	v_mul_f16_e32 v124, 0x35c8, v46
	v_mul_f16_e64 v128, 0xbb29, v94
	v_fma_f16 v130, v146, 0xbbdd, -v102
	v_fma_f16 v131, v146, 0xb461, -v109
	v_add_f16_e32 v98, v114, v98
	v_fma_f16 v94, v146, 0x3b76, -v124
	v_fma_f16 v114, 0x3722, v68, v128
	v_mul_f16_e64 v137, 0xbb29, v46
	v_mul_f16_e64 v152, 0xb836, v46
	;; [unrolled: 1-line block ×3, first 2 shown]
	v_add_f16_e64 v101, v130, v101
	v_add_f16_e64 v72, v131, v72
	v_add_f16_e32 v123, v94, v123
	v_add_f16_e32 v127, v114, v127
	v_fma_f16 v114, v146, 0x3722, -v137
	v_fma_f16 v130, v146, 0xbacd, -v152
	;; [unrolled: 1-line block ×3, first 2 shown]
	v_pk_mul_f16 v46, 0x3964, v46 op_sel_hi:[0,1]
	v_lshrrev_b32_e32 v148, 16, v74
	v_mul_f16_e32 v94, 0xbbb2, v47
	v_add_f16_e32 v113, v114, v113
	v_add_f16_e64 v133, v130, v107
	v_add_f16_e64 v135, v131, v110
	v_pk_fma_f16 v107, 0x39e9, v68, v46 op_sel:[0,0,1] op_sel_hi:[0,1,0] neg_lo:[0,0,1] neg_hi:[0,0,1]
	v_fma_f16 v131, v148, 0xb461, -v94
	v_mul_f16_e32 v110, 0x3836, v47
	v_mul_f16_e32 v114, 0x3964, v47
	v_mul_f16_e64 v130, 0xbb29, v47
	v_pk_add_f16 v129, v107, v129
	v_add_f16_e64 v138, v131, v98
	v_fma_f16 v98, v148, 0xbacd, -v110
	v_fma_f16 v107, v148, 0x39e9, -v114
	v_mul_f16_e64 v131, 0xb1e1, v78
	v_mul_f16_e64 v143, 0xb1e1, v47
	v_fma_f16 v136, v148, 0x3722, -v130
	v_add_f16_e32 v78, v98, v101
	v_add_f16_e32 v72, v107, v72
	v_fma_f16 v98, 0xbbdd, v74, v131
	v_fma_f16 v107, v148, 0xbbdd, -v143
	v_mul_f16_e64 v160, 0x3bf7, v47
	v_mul_f16_e64 v166, 0xb5c8, v47
	v_pk_mul_f16 v47, 0xba62, v47 op_sel_hi:[0,1]
	v_add_f16_e64 v101, v136, v123
	v_add_f16_e32 v127, v98, v127
	v_add_f16_e32 v113, v107, v113
	v_fma_f16 v123, v148, 0x2de8, -v160
	v_pk_fma_f16 v142, 0xb8d2, v74, v47 op_sel:[0,0,1] op_sel_hi:[0,1,0] neg_lo:[0,0,1] neg_hi:[0,0,1]
	v_lshrrev_b32_e32 v149, 16, v69
	v_mul_f16_e32 v98, 0xba62, v42
	v_mul_f16_e32 v107, 0x3bb2, v42
	v_fma_f16 v136, v148, 0x3b76, -v166
	v_add_f16_e64 v144, v123, v133
	v_pk_add_f16 v142, v142, v129
	v_fma_f16 v129, v149, 0xb8d2, -v98
	v_fma_f16 v150, v149, 0xb461, -v107
	v_mul_f16_e32 v123, 0xb5c8, v42
	v_add_f16_e64 v135, v136, v135
	v_mul_f16_e64 v136, 0x3bf7, v49
	v_add_f16_e64 v49, v129, v138
	v_add_f16_e64 v78, v150, v78
	v_fma_f16 v129, v149, 0x3b76, -v123
	v_mul_f16_e64 v150, 0x3bf7, v42
	v_mul_f16_e64 v133, 0xb836, v42
	v_fma_f16 v151, 0x2de8, v69, v136
	v_mul_f16_e64 v163, 0xb964, v42
	v_add_f16_e64 v72, v129, v72
	v_fma_f16 v129, v149, 0x2de8, -v150
	v_mul_f16_e64 v167, 0xb1e1, v42
	v_fma_f16 v138, v149, 0xbacd, -v133
	v_add_f16_e64 v127, v151, v127
	v_fma_f16 v151, v149, 0x39e9, -v163
	v_pk_mul_f16 v42, 0x3b29, v42 op_sel_hi:[0,1]
	v_add_f16_e64 v158, v129, v113
	v_fma_f16 v129, v149, 0xbbdd, -v167
	v_add_f16_e64 v138, v138, v101
	v_lshrrev_b32_e32 v153, 16, v84
	v_mul_f16_e32 v101, 0xb836, v23
	v_add_f16_e64 v151, v151, v144
	v_pk_fma_f16 v144, 0x3722, v69, v42 op_sel:[0,0,1] op_sel_hi:[0,1,0] neg_lo:[0,0,1] neg_hi:[0,0,1]
	v_mul_f16_e32 v113, 0x3b29, v23
	v_add_f16_e64 v135, v129, v135
	v_mul_f16_e64 v129, 0xbbf7, v23
	v_fma_f16 v156, v153, 0xbacd, -v101
	v_pk_add_f16 v159, v144, v142
	v_fma_f16 v161, v153, 0x3722, -v113
	v_mul_f16_e64 v144, 0xb5c8, v115
	v_fma_f16 v165, v153, 0x2de8, -v129
	v_add_f16_e64 v49, v156, v49
	v_mul_f16_e64 v142, 0x3a62, v23
	v_mul_f16_e64 v156, 0xb5c8, v23
	v_add_f16_e64 v78, v161, v78
	v_add_f16_e64 v72, v165, v72
	v_fma_f16 v161, 0x3b76, v84, v144
	v_mul_f16_e64 v165, 0xb1e1, v23
	v_pk_fma_f16 v27, 0xbbdd, v83, v27 op_sel:[0,0,1] op_sel_hi:[0,1,0]
	v_fma_f16 v115, v153, 0xb8d2, -v142
	v_fma_f16 v168, v153, 0x3b76, -v156
	v_mul_f16_e64 v169, 0x3964, v23
	v_add_f16_e64 v171, v161, v127
	v_fma_f16 v127, v153, 0xbbdd, -v165
	v_pk_mul_f16 v23, 0xbbb2, v23 op_sel_hi:[0,1]
	v_pk_add_f16 v27, v27, v4
	v_pk_fma_f16 v44, 0x3b76, v66, v44 op_sel:[0,0,1] op_sel_hi:[0,1,0]
	v_add_f16_e64 v170, v115, v138
	v_add_f16_e64 v168, v168, v158
	v_lshrrev_b32_e32 v158, 16, v88
	v_mul_f16_e32 v115, 0xb1e1, v81
	v_add_f16_e64 v172, v127, v151
	v_pk_fma_f16 v127, 0xb461, v84, v23 op_sel:[0,0,1] op_sel_hi:[0,1,0] neg_lo:[0,0,1] neg_hi:[0,0,1]
	v_pk_add_f16 v27, v44, v27
	v_pk_fma_f16 v45, 0xbacd, v67, v45 op_sel:[0,0,1] op_sel_hi:[0,1,0]
	v_fma_f16 v138, v153, 0x39e9, -v169
	v_fma_f16 v151, v158, 0xbbdd, -v115
	v_pk_add_f16 v173, v127, v159
	v_mul_f16_e32 v127, 0x35c8, v81
	v_pk_add_f16 v27, v45, v27
	v_pk_fma_f16 v45, 0x39e9, v68, v46 op_sel:[0,0,1] op_sel_hi:[0,1,0]
	v_add_f16_e64 v135, v138, v135
	v_mul_f16_e64 v138, 0xb836, v81
	v_add_f16_e64 v44, v151, v49
	v_fma_f16 v46, v158, 0x3b76, -v127
	v_mul_f16_e64 v151, 0x3964, v81
	v_mul_f16_e64 v161, 0xba62, v81
	v_pk_add_f16 v27, v45, v27
	v_pk_fma_f16 v47, 0xb8d2, v74, v47 op_sel:[0,0,1] op_sel_hi:[0,1,0]
	v_fma_f16 v49, v158, 0xbacd, -v138
	v_add_f16_e32 v45, v46, v78
	v_fma_f16 v78, v158, 0x39e9, -v151
	v_fma_f16 v159, v158, 0xb8d2, -v161
	v_pk_add_f16 v27, v47, v27
	v_pk_fma_f16 v42, 0x3722, v69, v42 op_sel:[0,0,1] op_sel_hi:[0,1,0]
	s_load_b64 s[2:3], s[0:1], 0x20
	v_add_f16_e32 v46, v49, v72
	v_add_f16_e64 v47, v78, v170
	v_add_f16_e64 v49, v159, v168
	v_mul_f16_e64 v168, 0x3b29, v81
	v_mul_f16_e64 v170, 0xbbb2, v81
	v_pk_add_f16 v27, v42, v27
	v_pk_fma_f16 v23, 0xb461, v84, v23 op_sel:[0,0,1] op_sel_hi:[0,1,0]
	v_pk_mul_f16 v42, 0x3bf7, v81 op_sel_hi:[0,1]
	v_mul_f16_e64 v159, 0xba62, v134
	v_fma_f16 v72, v158, 0x3722, -v168
	v_fma_f16 v81, v158, 0xb461, -v170
	v_pk_add_f16 v27, v23, v27
	v_pk_fma_f16 v23, 0x2de8, v88, v42 op_sel:[0,0,1] op_sel_hi:[0,1,0] neg_lo:[0,0,1] neg_hi:[0,0,1]
	v_fma_f16 v134, 0xb8d2, v88, v159
	v_pk_fma_f16 v42, 0x2de8, v88, v42 op_sel:[0,0,1] op_sel_hi:[0,1,0]
	v_add_f16_e64 v78, v72, v172
	v_add_f16_e64 v81, v81, v135
	v_pk_add_f16 v72, v23, v173
	v_add_f16_e64 v23, v134, v171
	v_pk_add_f16 v27, v42, v27
	v_mul_lo_u16 v42, v40, 17
	global_wb scope:SCOPE_SE
	s_wait_kmcnt 0x0
	s_barrier_signal -1
	s_barrier_wait -1
	global_inv scope:SCOPE_SE
	s_and_saveexec_b32 s4, vcc_lo
	s_cbranch_execz .LBB0_7
; %bb.6:
	v_mul_f16_e64 v178, 0xbacd, v157
	v_mul_f16_e64 v134, 0x3b76, v83
	;; [unrolled: 1-line block ×5, first 2 shown]
	v_add_f16_e64 v154, v154, v178
	v_mul_f16_e64 v178, 0x3722, v141
	v_mul_f16_e64 v177, 0xb461, v83
	;; [unrolled: 1-line block ×3, first 2 shown]
	v_mul_f16_e32 v83, 0xbacd, v83
	v_add_f16_e64 v154, v154, v82
	v_add_f16_e64 v155, v155, v178
	v_mul_f16_e64 v178, 0x2de8, v145
	v_mul_f16_e64 v190, 0xbbdd, v149
	;; [unrolled: 1-line block ×4, first 2 shown]
	v_add_f16_e64 v154, v155, v154
	v_add_f16_e64 v155, v162, v178
	v_mul_f16_e64 v162, 0xb8d2, v146
	v_mul_f16_e64 v185, 0xb8d2, v66
	;; [unrolled: 1-line block ×4, first 2 shown]
	v_add_f16_e64 v154, v155, v154
	v_add_f16_e64 v155, v164, v162
	v_mul_f16_e64 v162, 0x3b76, v148
	v_mul_f16_e64 v189, 0xb461, v66
	v_mul_f16_e32 v66, 0x3722, v66
	v_sub_f16_e32 v65, v83, v65
	v_add_f16_e64 v154, v155, v154
	v_add_f16_e64 v155, v166, v162
	;; [unrolled: 1-line block ×3, first 2 shown]
	v_sub_f16_e32 v66, v66, v70
	v_add_f16_e32 v65, v65, v4
	v_mul_f16_e64 v135, 0x3b76, v157
	v_add_f16_e64 v154, v155, v154
	v_mul_f16_e64 v172, 0x39e9, v157
	v_mul_f16_e64 v174, 0x3722, v157
	v_add_f16_e32 v65, v66, v65
	v_mul_f16_e64 v176, 0x2de8, v157
	v_add_f16_e64 v154, v167, v154
	v_mul_f16_e64 v167, 0x2de8, v67
	v_mul_f16_e64 v179, 0xb461, v157
	;; [unrolled: 1-line block ×5, first 2 shown]
	v_sub_f16_e64 v75, v167, v75
	v_mul_f16_e64 v184, 0x2de8, v141
	v_mul_f16_e64 v186, 0xb8d2, v141
	;; [unrolled: 1-line block ×4, first 2 shown]
	v_add_f16_e32 v65, v75, v65
	v_mul_f16_e32 v75, 0xb8d2, v68
	v_mul_f16_e64 v141, 0xb461, v141
	v_add_f16_e64 v169, v169, v190
	v_add_f16_e64 v139, v139, v157
	v_mul_f16_e64 v166, 0x3722, v145
	v_sub_f16_e32 v75, v75, v117
	v_mul_f16_e32 v117, 0x3b76, v74
	v_mul_f16_e64 v83, 0xb8d2, v145
	v_mul_f16_e64 v190, 0xbbdd, v145
	;; [unrolled: 1-line block ×3, first 2 shown]
	v_add_f16_e64 v154, v169, v154
	v_mul_f16_e64 v169, 0xb461, v145
	v_mul_f16_e64 v157, 0x39e9, v145
	;; [unrolled: 1-line block ×3, first 2 shown]
	v_add_f16_e64 v140, v140, v141
	v_add_f16_e64 v139, v139, v82
	v_add_f16_e32 v65, v75, v65
	v_sub_f16_e32 v117, v117, v118
	v_add_f16_e64 v66, v170, v66
	v_add_f16_e64 v145, v147, v145
	;; [unrolled: 1-line block ×3, first 2 shown]
	v_mul_f16_e64 v140, 0xbbdd, v69
	v_add_f16_e32 v65, v117, v65
	v_mul_f16_e64 v117, 0xbacd, v146
	v_add_f16_e64 v66, v66, v154
	v_add_f16_e64 v139, v145, v139
	v_sub_f16_e64 v122, v140, v122
	v_mul_f16_e64 v154, 0x2de8, v148
	v_add_f16_e64 v117, v152, v117
	v_sub_f16_e64 v60, v180, v60
	v_mul_f16_e64 v162, 0x3722, v67
	v_add_f16_e32 v65, v122, v65
	v_mul_f16_e32 v122, 0x39e9, v84
	v_add_f16_e64 v117, v117, v139
	v_add_f16_e64 v154, v160, v154
	v_mul_f16_e64 v155, 0xb8d2, v67
	v_mul_f16_e32 v70, 0xbbdd, v67
	v_mul_f16_e64 v167, 0xb461, v67
	v_mul_f16_e64 v170, 0x39e9, v67
	v_mul_f16_e32 v67, 0x3b76, v67
	v_sub_f16_e32 v119, v122, v119
	v_mul_f16_e64 v122, 0x39e9, v149
	v_add_f16_e64 v117, v154, v117
	v_mul_f16_e64 v154, 0xb461, v88
	v_sub_f16_e64 v62, v189, v62
	v_add_f16_e32 v60, v60, v4
	v_add_f16_e64 v125, v125, v179
	v_sub_f16_e64 v111, v177, v111
	v_mul_f16_e64 v141, 0x2de8, v68
	v_mul_f16_e32 v118, 0xbbdd, v68
	v_mul_f16_e64 v140, 0xb461, v68
	v_mul_f16_e64 v152, 0x3b76, v68
	;; [unrolled: 1-line block ×3, first 2 shown]
	v_mul_f16_e32 v68, 0xbacd, v68
	v_add_f16_e64 v122, v163, v122
	v_add_f16_e32 v65, v119, v65
	v_sub_f16_e64 v121, v154, v121
	v_mul_f16_e64 v154, 0xbbdd, v153
	v_add_f16_e32 v60, v62, v60
	v_sub_f16_e32 v64, v67, v64
	v_add_f16_e64 v126, v126, v164
	v_add_f16_e32 v125, v125, v82
	v_sub_f16_e64 v112, v188, v112
	v_add_f16_e32 v111, v111, v4
	v_add_f16_e64 v106, v106, v176
	v_mul_f16_e64 v75, 0x2de8, v146
	v_mul_f16_e64 v147, 0xbbdd, v146
	;; [unrolled: 1-line block ×6, first 2 shown]
	v_add_f16_e32 v117, v122, v117
	v_mul_f16_e32 v122, 0xbacd, v74
	v_add_f16_e64 v154, v165, v154
	v_mul_f16_e64 v165, 0x39e9, v74
	v_add_f16_e32 v65, v121, v65
	v_mul_f16_e32 v121, 0x3722, v74
	v_mul_f16_e32 v67, 0xbbdd, v74
	;; [unrolled: 1-line block ×3, first 2 shown]
	v_add_f16_e32 v60, v64, v60
	v_sub_f16_e32 v68, v68, v73
	v_add_f16_e32 v125, v126, v125
	v_add_f16_e64 v132, v132, v157
	v_add_f16_e32 v111, v112, v111
	v_sub_f16_e64 v112, v170, v120
	v_add_f16_e32 v106, v106, v82
	v_add_f16_e64 v108, v108, v187
	v_mul_f16_e64 v119, 0xb461, v148
	v_mul_f16_e64 v180, 0xbacd, v148
	;; [unrolled: 1-line block ×3, first 2 shown]
	v_add_f16_e64 v117, v154, v117
	v_mul_f16_e64 v154, 0x3722, v148
	v_mul_f16_e64 v62, 0x3722, v158
	v_mul_f16_e64 v148, 0xbbdd, v148
	v_add_f16_e32 v60, v68, v60
	v_sub_f16_e32 v74, v74, v105
	v_mul_f16_e64 v157, 0x39e9, v69
	v_add_f16_e64 v125, v132, v125
	v_add_f16_e64 v137, v137, v146
	v_add_f16_e32 v111, v112, v111
	v_sub_f16_e64 v112, v160, v128
	v_add_f16_e32 v106, v108, v106
	v_add_f16_e64 v108, v116, v169
	v_sub_f16_e64 v51, v175, v51
	v_pk_add_f16 v5, v5, v4
	v_add_f16_e64 v62, v168, v62
	v_mul_f16_e64 v168, 0xb8d2, v69
	v_mul_f16_e64 v179, 0xb461, v69
	;; [unrolled: 1-line block ×3, first 2 shown]
	v_mul_f16_e32 v105, 0xbacd, v69
	v_mul_f16_e32 v69, 0x2de8, v69
	v_add_f16_e32 v60, v74, v60
	v_sub_f16_e64 v103, v157, v103
	v_add_f16_e64 v125, v137, v125
	v_add_f16_e64 v143, v143, v148
	v_add_f16_e32 v111, v112, v111
	v_sub_f16_e64 v67, v67, v131
	v_add_f16_e32 v106, v108, v106
	v_add_f16_e64 v108, v124, v139
	v_add_f16_e32 v51, v51, v4
	v_sub_f16_e64 v52, v178, v52
	v_pk_add_f16 v5, v14, v5
	v_mul_f16_e64 v64, 0xb8d2, v149
	v_mul_f16_e64 v73, 0xb461, v149
	;; [unrolled: 1-line block ×5, first 2 shown]
	v_mul_f16_e32 v74, 0xbacd, v84
	v_mul_f16_e64 v132, 0x3722, v84
	v_add_f16_e32 v62, v62, v117
	v_mul_f16_e32 v117, 0x2de8, v84
	v_add_f16_e32 v60, v103, v60
	v_mul_f16_e32 v103, 0xbbdd, v84
	v_mul_f16_e64 v148, 0xb8d2, v84
	v_mul_f16_e32 v84, 0x3b76, v84
	v_add_f16_e64 v125, v143, v125
	v_mul_f16_e64 v143, 0x3722, v88
	v_add_f16_e32 v67, v67, v111
	v_sub_f16_e64 v69, v69, v136
	v_add_f16_e32 v106, v108, v106
	v_add_f16_e64 v108, v130, v154
	v_add_f16_e32 v51, v52, v51
	v_sub_f16_e64 v52, v167, v55
	v_pk_add_f16 v5, v15, v5
	v_sub_f16_e32 v99, v103, v99
	v_mul_f16_e64 v103, 0xb8d2, v153
	v_add_f16_e64 v149, v150, v149
	v_mul_f16_e64 v150, 0xbbdd, v88
	v_sub_f16_e64 v100, v143, v100
	v_mul_f16_e64 v143, 0x3b76, v88
	v_mul_f16_e64 v177, 0xbacd, v88
	v_mul_f16_e64 v188, 0x39e9, v88
	v_mul_f16_e32 v88, 0xb8d2, v88
	v_add_f16_e32 v55, v69, v67
	v_sub_f16_e64 v67, v84, v144
	v_add_f16_e32 v69, v108, v106
	v_add_f16_e64 v84, v133, v126
	v_add_f16_e32 v51, v52, v51
	v_sub_f16_e64 v52, v152, v58
	v_sub_f16_e64 v32, v171, v32
	v_pk_add_f16 v5, v12, v5
	v_add_f16_e32 v55, v67, v55
	v_sub_f16_e64 v58, v88, v159
	v_add_f16_e32 v67, v84, v69
	v_add_f16_e64 v69, v142, v103
	v_add_f16_e32 v51, v52, v51
	v_sub_f16_e32 v52, v121, v86
	v_add_f16_e64 v86, v95, v174
	v_add_f16_e32 v32, v32, v4
	v_sub_f16_e64 v14, v183, v29
	v_pk_add_f16 v5, v13, v5
	v_add_f16_e32 v55, v58, v55
	v_add_f16_e32 v58, v69, v67
	;; [unrolled: 1-line block ×3, first 2 shown]
	v_sub_f16_e32 v52, v105, v89
	v_add_f16_e32 v67, v86, v82
	v_add_f16_e64 v69, v96, v186
	v_sub_f16_e64 v35, v173, v35
	v_add_f16_e32 v14, v14, v32
	v_sub_f16_e64 v15, v155, v31
	v_pk_add_f16 v5, v10, v5
	v_add_f16_e32 v51, v52, v51
	v_sub_f16_e64 v52, v148, v87
	v_add_f16_e32 v67, v69, v67
	v_add_f16_e64 v69, v104, v190
	v_add_f16_e32 v35, v35, v4
	v_sub_f16_e64 v48, v185, v48
	v_add_f16_e32 v14, v15, v14
	v_sub_f16_e32 v15, v118, v34
	v_add_f16_e64 v32, v76, v135
	v_sub_f16_e64 v22, v134, v22
	v_pk_add_f16 v5, v11, v5
	v_add_f16_e32 v51, v52, v51
	v_add_f16_e32 v52, v69, v67
	v_add_f16_e64 v67, v109, v145
	v_add_f16_e32 v35, v48, v35
	v_sub_f16_e32 v48, v70, v50
	v_add_f16_e64 v69, v91, v172
	v_add_f16_e32 v14, v15, v14
	v_add_f16_e32 v15, v32, v82
	v_add_f16_e64 v10, v80, v182
	v_add_f16_e32 v4, v22, v4
	v_sub_f16_e64 v22, v181, v26
	v_pk_add_f16 v5, v8, v5
	v_add_f16_e32 v52, v67, v52
	v_add_f16_e64 v67, v114, v189
	v_add_f16_e32 v35, v48, v35
	v_sub_f16_e64 v48, v140, v53
	v_add_f16_e32 v53, v69, v82
	v_add_f16_e64 v69, v92, v184
	v_add_f16_e32 v10, v10, v15
	v_add_f16_e64 v11, v90, v166
	v_add_f16_e32 v4, v22, v4
	v_sub_f16_e64 v15, v162, v30
	v_pk_add_f16 v5, v9, v5
	v_mul_f16_e64 v137, 0x2de8, v153
	v_add_f16_e32 v52, v67, v52
	v_add_f16_e32 v67, v123, v68
	;; [unrolled: 1-line block ×3, first 2 shown]
	v_sub_f16_e64 v48, v165, v63
	v_add_f16_e32 v53, v69, v53
	v_add_f16_e32 v63, v97, v83
	;; [unrolled: 1-line block ×5, first 2 shown]
	v_sub_f16_e64 v9, v141, v33
	v_pk_add_f16 v5, v6, v5
	v_sub_f16_e64 v50, v188, v85
	v_add_f16_e32 v52, v67, v52
	v_add_f16_e64 v67, v129, v137
	v_add_f16_e32 v35, v48, v35
	v_sub_f16_e64 v48, v164, v79
	v_add_f16_e32 v53, v63, v53
	v_add_f16_e64 v63, v102, v147
	v_add_f16_e32 v10, v11, v10
	v_add_f16_e32 v11, v94, v119
	;; [unrolled: 1-line block ×3, first 2 shown]
	v_sub_f16_e64 v6, v163, v36
	v_pk_add_f16 v5, v7, v5
	v_add_f16_e32 v50, v50, v51
	v_add_f16_e32 v51, v67, v52
	;; [unrolled: 1-line block ×3, first 2 shown]
	v_sub_f16_e32 v48, v117, v77
	v_add_f16_e32 v52, v63, v53
	v_add_f16_e64 v53, v110, v180
	v_sub_f16_e32 v26, v122, v43
	v_mul_f16_e64 v157, 0xbacd, v153
	v_add_f16_e32 v9, v11, v10
	v_add_f16_e32 v7, v98, v64
	;; [unrolled: 1-line block ×3, first 2 shown]
	v_sub_f16_e64 v6, v168, v37
	v_pk_add_f16 v2, v2, v5
	v_mul_f16_e64 v146, 0x3722, v153
	v_mul_f16_e64 v153, 0x3b76, v153
	v_add_f16_e32 v35, v48, v35
	v_add_f16_e32 v48, v53, v52
	;; [unrolled: 1-line block ×4, first 2 shown]
	v_sub_f16_e64 v14, v179, v56
	v_add_f16_e32 v60, v99, v60
	v_mul_f16_e64 v99, 0xbbdd, v158
	v_add_f16_e32 v5, v7, v9
	v_add_f16_e64 v7, v101, v157
	v_add_f16_e32 v4, v6, v4
	v_sub_f16_e32 v6, v74, v54
	v_pk_add_f16 v2, v3, v2
	v_add_f16_e64 v125, v149, v125
	v_mul_f16_e64 v149, 0x3b76, v158
	v_add_f16_e64 v153, v156, v153
	v_mul_f16_e64 v156, 0xbacd, v158
	v_add_f16_e32 v48, v52, v48
	v_add_f16_e64 v52, v113, v146
	v_add_f16_e32 v8, v14, v8
	v_sub_f16_e64 v10, v132, v57
	v_mul_f16_e64 v176, 0x39e9, v158
	v_mul_f16_e64 v158, 0xb8d2, v158
	v_add_f16_e32 v5, v7, v5
	v_add_f16_e32 v7, v115, v99
	;; [unrolled: 1-line block ×3, first 2 shown]
	v_pk_add_f16 v0, v0, v2
	v_sub_f16_e64 v2, v150, v59
	v_add_f16_e64 v63, v138, v156
	v_sub_f16_e64 v29, v177, v71
	v_add_f16_e32 v12, v52, v48
	v_add_f16_e64 v13, v127, v149
	v_add_f16_e32 v3, v10, v8
	v_sub_f16_e64 v6, v143, v61
	v_add_f16_e32 v60, v100, v60
	v_add_f16_e64 v100, v153, v125
	v_add_f16_e64 v116, v161, v158
	;; [unrolled: 1-line block ×3, first 2 shown]
	v_add_f16_e32 v5, v7, v5
	v_and_b32_e32 v7, 0xffff, v42
	v_pk_add_f16 v0, v1, v0
	v_add_f16_e32 v1, v2, v4
	v_add_f16_e32 v31, v63, v51
	;; [unrolled: 1-line block ×7, first 2 shown]
	v_add_lshl_u32 v4, v28, v7, 2
	v_pk_add_f16 v0, v16, v0
	v_pack_b32_f16 v1, v1, v5
	v_pack_b32_f16 v5, v29, v31
	;; [unrolled: 1-line block ×7, first 2 shown]
	ds_store_2addr_b32 v4, v0, v1 offset1:1
	ds_store_2addr_b32 v4, v2, v5 offset0:2 offset1:3
	ds_store_2addr_b32 v4, v6, v3 offset0:4 offset1:5
	;; [unrolled: 1-line block ×3, first 2 shown]
	v_bfi_b32 v0, 0xffff, v27, v72
	v_bfi_b32 v1, 0xffff, v72, v27
	v_perm_b32 v2, v78, v25, 0x5040100
	v_perm_b32 v3, v81, v24, 0x5040100
	;; [unrolled: 1-line block ×7, first 2 shown]
	ds_store_2addr_b32 v4, v1, v0 offset0:8 offset1:9
	ds_store_2addr_b32 v4, v3, v2 offset0:10 offset1:11
	;; [unrolled: 1-line block ×4, first 2 shown]
	ds_store_b32 v4, v9 offset:64
.LBB0_7:
	s_wait_alu 0xfffe
	s_or_b32 exec_lo, exec_lo, s4
	v_add_lshl_u32 v48, v28, v40, 2
	global_wb scope:SCOPE_SE
	s_wait_dscnt 0x0
	s_barrier_signal -1
	s_barrier_wait -1
	global_inv scope:SCOPE_SE
	v_add_nc_u32_e32 v2, 0x400, v48
	v_add_nc_u32_e32 v3, 0x800, v48
	s_load_b64 s[8:9], s[0:1], 0x8
	ds_load_2addr_b32 v[0:1], v48 offset1:68
	ds_load_2addr_b32 v[6:7], v48 offset0:187 offset1:255
	ds_load_2addr_b32 v[4:5], v2 offset0:118 offset1:186
	;; [unrolled: 1-line block ×3, first 2 shown]
	v_cmp_gt_u16_e64 s0, 51, v40
	v_lshrrev_b32_e32 v29, 16, v27
	s_delay_alu instid0(VALU_DEP_2)
	s_and_saveexec_b32 s1, s0
	s_cbranch_execz .LBB0_9
; %bb.8:
	v_add_nc_u32_e32 v8, 0x200, v48
	v_add_nc_u32_e32 v9, 0x700, v48
	ds_load_2addr_b32 v[26:27], v8 offset0:8 offset1:195
	ds_load_2addr_b32 v[24:25], v9 offset0:62 offset1:249
	s_wait_dscnt 0x1
	v_lshrrev_b32_e32 v29, 16, v26
	s_wait_dscnt 0x0
	v_lshrrev_b32_e32 v81, 16, v24
	v_lshrrev_b32_e32 v78, 16, v25
	v_bfi_b32 v72, 0xffff, v26, v27
.LBB0_9:
	s_wait_alu 0xfffe
	s_or_b32 exec_lo, exec_lo, s1
	v_and_b32_e32 v8, 0xff, v40
	v_add_nc_u16 v10, v40, 0x44
	v_add_nc_u16 v11, v40, 0x88
	s_wait_dscnt 0x1
	v_lshrrev_b32_e32 v35, 16, v4
	s_wait_dscnt 0x0
	v_lshrrev_b32_e32 v36, 16, v2
	v_mul_lo_u16 v8, 0xf1, v8
	v_lshrrev_b32_e32 v43, 16, v7
	v_and_b32_e32 v9, 0xff, v11
	v_lshrrev_b32_e32 v63, 16, v5
	v_lshrrev_b32_e32 v37, 16, v1
	v_lshrrev_b16 v22, 12, v8
	v_and_b32_e32 v8, 0xff, v10
	v_mul_lo_u16 v9, 0xf1, v9
	s_delay_alu instid0(VALU_DEP_3) | instskip(NEXT) | instid1(VALU_DEP_3)
	v_mul_lo_u16 v12, v22, 17
	v_mul_lo_u16 v8, 0xf1, v8
	s_delay_alu instid0(VALU_DEP_3) | instskip(SKIP_1) | instid1(VALU_DEP_4)
	v_lshrrev_b16 v32, 12, v9
	v_and_b32_e32 v22, 0xffff, v22
	v_sub_nc_u16 v12, v40, v12
	s_delay_alu instid0(VALU_DEP_4) | instskip(NEXT) | instid1(VALU_DEP_4)
	v_lshrrev_b16 v26, 12, v8
	v_mul_lo_u16 v13, v32, 17
	s_delay_alu instid0(VALU_DEP_4)
	v_mul_u32_u24_e32 v22, 0x44, v22
	v_and_b32_e32 v51, 0xffff, v32
	v_and_b32_e32 v33, 0xff, v12
	v_mul_lo_u16 v12, v26, 17
	v_sub_nc_u16 v11, v11, v13
	v_and_b32_e32 v26, 0xffff, v26
	s_wait_kmcnt 0x0
	v_mad_co_u64_u32 v[8:9], null, v33, 12, s[8:9]
	v_sub_nc_u16 v10, v10, v12
	v_and_b32_e32 v50, 0xff, v11
	v_mul_u32_u24_e32 v26, 0x44, v26
	v_add_nc_u32_e32 v22, v22, v33
	v_lshrrev_b32_e32 v33, 16, v3
	v_and_b32_e32 v34, 0xff, v10
	global_load_b96 v[14:16], v[8:9], off
	v_mad_co_u64_u32 v[30:31], null, v50, 12, s[8:9]
	v_add_lshl_u32 v56, v28, v22, 2
	v_mad_co_u64_u32 v[8:9], null, v34, 12, s[8:9]
	v_add_nc_u32_e32 v26, v26, v34
	v_lshrrev_b32_e32 v34, 16, v72
	s_clause 0x1
	global_load_b96 v[11:13], v[8:9], off
	global_load_b96 v[8:10], v[30:31], off
	v_lshrrev_b32_e32 v31, 16, v6
	v_add_lshl_u32 v54, v28, v26, 2
	v_lshrrev_b32_e32 v30, 16, v0
	s_load_b128 s[4:7], s[2:3], 0x0
	global_wb scope:SCOPE_SE
	s_wait_loadcnt 0x0
	s_wait_kmcnt 0x0
	s_barrier_signal -1
	s_barrier_wait -1
	global_inv scope:SCOPE_SE
	v_lshrrev_b32_e32 v62, 16, v14
	v_lshrrev_b32_e32 v61, 16, v15
	v_lshrrev_b32_e32 v59, 16, v16
	s_delay_alu instid0(VALU_DEP_3) | instskip(SKIP_1) | instid1(VALU_DEP_4)
	v_mul_f16_e32 v22, v31, v62
	v_mul_f16_e32 v26, v6, v62
	;; [unrolled: 1-line block ×6, first 2 shown]
	v_lshrrev_b32_e32 v60, 16, v11
	v_lshrrev_b32_e32 v58, 16, v12
	;; [unrolled: 1-line block ×5, first 2 shown]
	v_fma_f16 v6, v6, v14, -v22
	v_fmac_f16_e32 v26, v31, v14
	v_fma_f16 v4, v4, v15, -v32
	v_fmac_f16_e32 v64, v35, v15
	;; [unrolled: 2-line block ×3, first 2 shown]
	v_mul_f16_e32 v31, v43, v60
	v_mul_f16_e32 v32, v7, v60
	;; [unrolled: 1-line block ×7, first 2 shown]
	v_lshrrev_b32_e32 v55, 16, v9
	v_mul_f16_e32 v2, v27, v53
	v_mul_f16_e32 v71, v78, v52
	v_fma_f16 v7, v7, v11, -v31
	v_fmac_f16_e32 v32, v43, v11
	v_fma_f16 v5, v5, v12, -v35
	v_fmac_f16_e32 v36, v63, v12
	;; [unrolled: 2-line block ×3, first 2 shown]
	v_fma_f16 v3, v27, v8, -v68
	v_sub_f16_e32 v27, v0, v4
	v_sub_f16_e32 v33, v30, v64
	;; [unrolled: 1-line block ×4, first 2 shown]
	v_mul_f16_e32 v69, v81, v55
	v_mul_f16_e32 v73, v25, v52
	v_fma_f16 v25, v25, v10, -v71
	v_fma_f16 v30, v30, 2.0, -v33
	v_fma_f16 v26, v26, 2.0, -v22
	v_sub_f16_e32 v43, v27, v22
	v_add_f16_e32 v63, v33, v4
	v_sub_f16_e32 v64, v1, v5
	v_sub_f16_e32 v36, v37, v36
	;; [unrolled: 1-line block ×4, first 2 shown]
	v_mul_f16_e32 v70, v24, v55
	v_fmac_f16_e32 v2, v34, v8
	v_fma_f16 v24, v24, v9, -v69
	v_fma_f16 v34, v0, 2.0, -v27
	v_fma_f16 v35, v6, 2.0, -v4
	v_sub_f16_e32 v6, v3, v25
	v_sub_f16_e32 v25, v30, v26
	v_fma_f16 v26, v27, 2.0, -v43
	v_fma_f16 v27, v33, 2.0, -v63
	v_fma_f16 v1, v1, 2.0, -v64
	v_fma_f16 v33, v37, 2.0, -v36
	v_fma_f16 v7, v7, 2.0, -v22
	v_fma_f16 v32, v32, 2.0, -v31
	v_fmac_f16_e32 v70, v81, v9
	v_fmac_f16_e32 v73, v78, v10
	v_sub_f16_e32 v0, v72, v24
	v_sub_f16_e32 v24, v34, v35
	;; [unrolled: 1-line block ×3, first 2 shown]
	v_add_f16_e32 v35, v36, v22
	v_sub_f16_e32 v7, v1, v7
	v_sub_f16_e32 v32, v33, v32
	;; [unrolled: 1-line block ×4, first 2 shown]
	v_fma_f16 v34, v34, 2.0, -v24
	v_fma_f16 v30, v30, 2.0, -v25
	v_pack_b32_f16 v37, v43, v63
	v_fma_f16 v43, v64, 2.0, -v31
	v_fma_f16 v36, v36, 2.0, -v35
	v_pack_b32_f16 v26, v26, v27
	v_fma_f16 v1, v1, 2.0, -v7
	v_fma_f16 v27, v33, 2.0, -v32
	v_sub_f16_e32 v22, v0, v5
	v_pack_b32_f16 v24, v24, v25
	v_add_f16_e32 v73, v4, v6
	v_pack_b32_f16 v30, v34, v30
	v_pack_b32_f16 v25, v31, v35
	v_pack_b32_f16 v31, v43, v36
	v_pack_b32_f16 v1, v1, v27
	v_pack_b32_f16 v7, v7, v32
	ds_store_2addr_b32 v56, v24, v37 offset0:34 offset1:51
	ds_store_2addr_b32 v56, v30, v26 offset1:17
	ds_store_2addr_b32 v54, v1, v31 offset1:17
	ds_store_2addr_b32 v54, v7, v25 offset0:34 offset1:51
	s_and_saveexec_b32 s1, s0
	s_cbranch_execz .LBB0_11
; %bb.10:
	v_fma_f16 v1, v72, 2.0, -v0
	v_fma_f16 v3, v3, 2.0, -v6
	;; [unrolled: 1-line block ×4, first 2 shown]
	v_mul_u32_u24_e32 v5, 0x44, v51
	v_fma_f16 v0, v0, 2.0, -v22
	v_sub_f16_e32 v3, v1, v3
	v_fma_f16 v4, v4, 2.0, -v73
	v_sub_f16_e32 v2, v6, v2
	v_add_nc_u32_e32 v5, v5, v50
	v_perm_b32 v7, v73, v22, 0x5040100
	v_fma_f16 v1, v1, 2.0, -v3
	v_pack_b32_f16 v0, v0, v4
	v_fma_f16 v6, v6, 2.0, -v2
	v_add_lshl_u32 v4, v28, v5, 2
	v_pack_b32_f16 v2, v3, v2
	s_delay_alu instid0(VALU_DEP_3)
	v_pack_b32_f16 v1, v1, v6
	ds_store_2addr_b32 v4, v1, v0 offset1:17
	ds_store_2addr_b32 v4, v2, v7 offset0:34 offset1:51
.LBB0_11:
	s_wait_alu 0xfffe
	s_or_b32 exec_lo, exec_lo, s1
	v_mad_co_u64_u32 v[24:25], null, v40, 40, s[8:9]
	global_wb scope:SCOPE_SE
	s_wait_dscnt 0x0
	s_barrier_signal -1
	s_barrier_wait -1
	global_inv scope:SCOPE_SE
	v_add_nc_u32_e32 v32, 0x400, v48
	v_add_nc_u32_e32 v34, 0x800, v48
	s_clause 0x2
	global_load_b128 v[4:7], v[24:25], off offset:204
	global_load_b128 v[0:3], v[24:25], off offset:220
	global_load_b64 v[24:25], v[24:25], off offset:236
	ds_load_2addr_b32 v[26:27], v48 offset1:68
	ds_load_2addr_b32 v[28:29], v48 offset0:136 offset1:204
	ds_load_b32 v74, v48 offset:2720
	ds_load_2addr_b32 v[30:31], v32 offset0:16 offset1:84
	ds_load_2addr_b32 v[32:33], v32 offset0:152 offset1:220
	;; [unrolled: 1-line block ×3, first 2 shown]
	v_lshl_add_u32 v43, v40, 2, v41
	s_delay_alu instid0(VALU_DEP_1)
	v_add_nc_u32_e32 v36, 0x200, v43
	v_add_nc_u32_e32 v37, 0x400, v43
	;; [unrolled: 1-line block ×4, first 2 shown]
	s_wait_dscnt 0x3
	v_lshrrev_b32_e32 v79, 16, v74
	v_lshrrev_b32_e32 v76, 16, v27
	;; [unrolled: 1-line block ×3, first 2 shown]
	s_wait_dscnt 0x0
	v_lshrrev_b32_e32 v85, 16, v35
	v_lshrrev_b32_e32 v75, 16, v26
	;; [unrolled: 1-line block ×8, first 2 shown]
	s_wait_loadcnt 0x2
	v_lshrrev_b32_e32 v71, 16, v4
	v_lshrrev_b32_e32 v72, 16, v5
	;; [unrolled: 1-line block ×3, first 2 shown]
	s_wait_loadcnt 0x0
	v_lshrrev_b32_e32 v63, 16, v24
	v_lshrrev_b32_e32 v64, 16, v25
	v_mul_f16_e32 v88, v76, v71
	v_mul_f16_e32 v89, v27, v71
	v_lshrrev_b32_e32 v70, 16, v6
	v_lshrrev_b32_e32 v68, 16, v0
	;; [unrolled: 1-line block ×5, first 2 shown]
	v_mul_f16_e32 v90, v77, v72
	v_mul_f16_e32 v91, v28, v72
	;; [unrolled: 1-line block ×6, first 2 shown]
	v_fma_f16 v27, v27, v4, -v88
	v_fmac_f16_e32 v89, v76, v4
	v_mul_f16_e32 v92, v78, v70
	v_mul_f16_e32 v93, v29, v70
	;; [unrolled: 1-line block ×12, first 2 shown]
	v_fma_f16 v28, v28, v5, -v90
	v_fmac_f16_e32 v91, v77, v5
	v_fmac_f16_e32 v95, v80, v7
	v_fma_f16 v80, v35, v24, -v104
	v_fma_f16 v74, v74, v25, -v106
	v_fmac_f16_e32 v107, v79, v25
	v_add_f16_e32 v35, v26, v27
	v_add_f16_e32 v76, v75, v89
	v_fma_f16 v29, v29, v6, -v92
	v_fmac_f16_e32 v93, v78, v6
	v_fma_f16 v30, v30, v7, -v94
	v_fma_f16 v31, v31, v0, -v96
	v_fmac_f16_e32 v97, v81, v0
	v_fma_f16 v32, v32, v1, -v98
	v_fmac_f16_e32 v99, v82, v1
	;; [unrolled: 2-line block ×4, first 2 shown]
	v_fmac_f16_e32 v105, v85, v24
	v_add_f16_e32 v77, v27, v74
	v_sub_f16_e32 v27, v27, v74
	v_sub_f16_e32 v79, v89, v107
	v_add_f16_e32 v81, v28, v80
	v_sub_f16_e32 v83, v28, v80
	v_add_f16_e32 v28, v35, v28
	v_add_f16_e32 v35, v76, v91
	;; [unrolled: 1-line block ×4, first 2 shown]
	v_sub_f16_e32 v84, v91, v105
	v_add_f16_e32 v85, v29, v34
	v_sub_f16_e32 v89, v29, v34
	v_sub_f16_e32 v90, v93, v103
	;; [unrolled: 1-line block ×6, first 2 shown]
	v_mul_f16_e32 v76, 0xb853, v79
	v_mul_f16_e32 v91, 0xb853, v27
	;; [unrolled: 1-line block ×10, first 2 shown]
	v_add_f16_e32 v28, v28, v29
	v_add_f16_e32 v29, v35, v93
	;; [unrolled: 1-line block ×7, first 2 shown]
	v_mul_f16_e32 v114, 0xbb47, v84
	v_mul_f16_e32 v115, 0xbb47, v83
	;; [unrolled: 1-line block ×16, first 2 shown]
	v_mul_f16_e64 v128, 0xb853, v90
	v_mul_f16_e64 v129, 0xb853, v89
	v_mul_f16_e32 v90, 0xba0c, v90
	v_mul_f16_e32 v89, 0xba0c, v89
	v_mul_f16_e64 v130, 0xba0c, v98
	v_mul_f16_e64 v131, 0xba0c, v96
	;; [unrolled: 1-line block ×8, first 2 shown]
	v_mul_f16_e32 v98, 0x3b47, v98
	v_mul_f16_e32 v96, 0x3b47, v96
	v_mul_f16_e64 v138, 0xb482, v106
	v_mul_f16_e64 v139, 0xb482, v104
	;; [unrolled: 1-line block ×8, first 2 shown]
	v_mul_f16_e32 v106, 0xbbeb, v106
	v_mul_f16_e32 v104, 0xbbeb, v104
	v_fma_f16 v35, v77, 0x3abb, -v76
	v_fmamk_f16 v93, v78, 0x3abb, v91
	v_fmac_f16_e32 v76, 0x3abb, v77
	v_fma_f16 v91, v78, 0x3abb, -v91
	v_fma_f16 v146, v77, 0x36a6, -v108
	v_fma_f16 v147, 0x36a6, v78, v109
	v_fmac_f16_e32 v108, 0x36a6, v77
	v_fma_f16 v109, v78, 0x36a6, -v109
	v_fma_f16 v148, v77, 0xb08e, -v110
	v_fma_f16 v149, 0xb08e, v78, v111
	;; [unrolled: 4-line block ×4, first 2 shown]
	v_add_f16_e32 v28, v28, v30
	v_add_f16_e32 v29, v29, v95
	v_fmac_f16_e32 v79, 0xbbad, v77
	v_fma_f16 v27, v78, 0xbbad, -v27
	v_fma_f16 v77, v81, 0x36a6, -v114
	v_fmamk_f16 v78, v82, 0x36a6, v115
	v_fmac_f16_e32 v114, 0x36a6, v81
	v_fma_f16 v115, v82, 0x36a6, -v115
	v_fma_f16 v154, v81, 0xb93d, -v116
	v_fma_f16 v155, 0xb93d, v82, v117
	v_fmac_f16_e32 v116, 0xb93d, v81
	v_fma_f16 v117, v82, 0xb93d, -v117
	v_fma_f16 v156, v81, 0xbbad, -v118
	v_fma_f16 v157, 0xbbad, v82, v119
	;; [unrolled: 4-line block ×4, first 2 shown]
	v_fmac_f16_e32 v84, 0x3abb, v81
	v_fma_f16 v81, v82, 0x3abb, -v83
	v_fma_f16 v82, v85, 0xb08e, -v122
	v_fmamk_f16 v83, v88, 0xb08e, v123
	v_fmac_f16_e32 v122, 0xb08e, v85
	v_fma_f16 v123, v88, 0xb08e, -v123
	v_fma_f16 v162, v85, 0xbbad, -v124
	v_fma_f16 v163, 0xbbad, v88, v125
	v_fmac_f16_e32 v124, 0xbbad, v85
	v_fma_f16 v125, v88, 0xbbad, -v125
	v_fma_f16 v164, v85, 0x36a6, -v126
	v_fma_f16 v165, 0x36a6, v88, v127
	;; [unrolled: 4-line block ×3, first 2 shown]
	v_fmac_f16_e64 v128, 0x3abb, v85
	v_fma_f16 v129, v88, 0x3abb, -v129
	v_fma_f16 v168, v85, 0xb93d, -v90
	v_fma_f16 v169, 0xb93d, v88, v89
	v_fmac_f16_e32 v90, 0xb93d, v85
	v_fma_f16 v85, v88, 0xb93d, -v89
	v_fma_f16 v88, v92, 0xb93d, -v130
	v_fma_f16 v89, 0xb93d, v94, v131
	v_fmac_f16_e64 v130, 0xb93d, v92
	v_fma_f16 v131, v94, 0xb93d, -v131
	v_fma_f16 v170, v92, 0xb08e, -v132
	v_fma_f16 v171, 0xb08e, v94, v133
	v_fmac_f16_e64 v132, 0xb08e, v92
	;; [unrolled: 4-line block ×4, first 2 shown]
	v_fma_f16 v137, v94, 0xbbad, -v137
	v_fma_f16 v176, v92, 0x36a6, -v98
	v_fma_f16 v177, 0x36a6, v94, v96
	v_fmac_f16_e32 v98, 0x36a6, v92
	v_fma_f16 v92, v94, 0x36a6, -v96
	v_fma_f16 v94, v100, 0xbbad, -v138
	v_fma_f16 v96, 0xbbad, v102, v139
	v_fmac_f16_e64 v138, 0xbbad, v100
	v_fma_f16 v139, v102, 0xbbad, -v139
	v_fma_f16 v178, v100, 0x3abb, -v140
	v_fma_f16 v179, 0x3abb, v102, v141
	v_fmac_f16_e64 v140, 0x3abb, v100
	;; [unrolled: 4-line block ×4, first 2 shown]
	v_fma_f16 v145, v102, 0x36a6, -v145
	v_fma_f16 v184, v100, 0xb08e, -v106
	v_fma_f16 v185, 0xb08e, v102, v104
	v_fmac_f16_e32 v106, 0xb08e, v100
	v_fma_f16 v100, v102, 0xb08e, -v104
	v_add_f16_e32 v30, v26, v35
	v_add_f16_e32 v35, v75, v93
	;; [unrolled: 1-line block ×4, first 2 shown]
	v_add_f16_e64 v93, v26, v146
	v_add_f16_e64 v95, v75, v147
	v_add_f16_e32 v102, v26, v108
	v_add_f16_e32 v104, v75, v109
	v_add_f16_e64 v108, v26, v148
	v_add_f16_e64 v109, v75, v149
	v_add_f16_e32 v110, v26, v110
	v_add_f16_e32 v111, v75, v111
	v_add_f16_e64 v147, v75, v151
	v_add_f16_e32 v112, v26, v112
	v_add_f16_e32 v113, v75, v113
	v_add_f16_e64 v148, v26, v152
	v_add_f16_e64 v149, v75, v153
	v_add_f16_e32 v28, v28, v31
	v_add_f16_e32 v29, v29, v97
	v_add_f16_e64 v146, v26, v150
	v_add_f16_e32 v26, v26, v79
	v_add_f16_e32 v27, v75, v27
	v_add_f16_e32 v30, v77, v30
	v_add_f16_e32 v31, v78, v35
	v_add_f16_e32 v35, v114, v76
	v_add_f16_e32 v75, v115, v91
	v_add_f16_e64 v76, v154, v93
	v_add_f16_e64 v77, v155, v95
	v_add_f16_e32 v78, v116, v102
	v_add_f16_e32 v79, v117, v104
	v_add_f16_e64 v91, v156, v108
	v_add_f16_e64 v93, v157, v109
	v_add_f16_e32 v95, v118, v110
	v_add_f16_e32 v97, v119, v111
	v_add_f16_e64 v104, v159, v147
	v_add_f16_e32 v108, v120, v112
	v_add_f16_e32 v109, v121, v113
	v_add_f16_e64 v110, v160, v148
	v_add_f16_e64 v111, v161, v149
	v_add_f16_e32 v28, v28, v32
	v_add_f16_e32 v29, v29, v99
	v_add_f16_e64 v102, v158, v146
	v_add_f16_e32 v26, v84, v26
	v_add_f16_e32 v27, v81, v27
	;; [unrolled: 1-line block ×6, first 2 shown]
	v_add_f16_e64 v75, v162, v76
	v_add_f16_e64 v76, v163, v77
	v_add_f16_e32 v77, v124, v78
	v_add_f16_e32 v78, v125, v79
	v_add_f16_e64 v79, v164, v91
	v_add_f16_e64 v81, v165, v93
	v_add_f16_e32 v82, v126, v95
	v_add_f16_e32 v83, v127, v97
	v_add_f16_e64 v91, v167, v104
	v_add_f16_e64 v93, v128, v108
	;; [unrolled: 1-line block ×5, first 2 shown]
	v_add_f16_e32 v28, v28, v33
	v_add_f16_e32 v29, v29, v101
	v_add_f16_e64 v84, v166, v102
	v_add_f16_e32 v26, v90, v26
	v_add_f16_e32 v30, v88, v30
	v_add_f16_e64 v33, v131, v35
	v_add_f16_e64 v35, v170, v75
	;; [unrolled: 1-line block ×11, first 2 shown]
	v_add_f16_e32 v99, v28, v34
	v_add_f16_e32 v101, v29, v103
	;; [unrolled: 1-line block ×4, first 2 shown]
	v_add_f16_e64 v89, v174, v84
	v_add_f16_e32 v98, v98, v26
	v_add_f16_e64 v84, v179, v75
	v_add_f16_e64 v26, v140, v77
	;; [unrolled: 1-line block ×4, first 2 shown]
	v_add_f16_e32 v75, v99, v80
	v_add_f16_e32 v88, v101, v105
	v_add_f16_e64 v79, v172, v79
	v_add_f16_e64 v81, v173, v81
	;; [unrolled: 1-line block ×3, first 2 shown]
	v_add_f16_e32 v92, v92, v27
	v_add_f16_e64 v32, v130, v32
	v_add_f16_e32 v74, v75, v74
	v_add_f16_e32 v75, v88, v107
	;; [unrolled: 1-line block ×4, first 2 shown]
	v_add_f16_e64 v29, v178, v35
	v_add_f16_e64 v76, v139, v33
	;; [unrolled: 1-line block ×9, first 2 shown]
	v_add_f16_e32 v31, v106, v98
	v_add_f16_e32 v80, v100, v92
	v_add_f16_e64 v27, v138, v32
	v_add_f16_e64 v32, v144, v91
	;; [unrolled: 1-line block ×3, first 2 shown]
	v_pack_b32_f16 v94, v74, v75
	v_pack_b32_f16 v89, v28, v85
	;; [unrolled: 1-line block ×11, first 2 shown]
	ds_store_b32 v43, v94
	ds_store_2addr_b32 v43, v89, v90 offset0:68 offset1:136
	ds_store_2addr_b32 v36, v88, v91 offset0:76 offset1:144
	;; [unrolled: 1-line block ×5, first 2 shown]
	global_wb scope:SCOPE_SE
	s_wait_dscnt 0x0
	s_barrier_signal -1
	s_barrier_wait -1
	global_inv scope:SCOPE_SE
	s_and_saveexec_b32 s1, vcc_lo
	s_cbranch_execz .LBB0_13
; %bb.12:
	global_load_b32 v88, v39, s[12:13] offset:2992
	s_add_nc_u64 s[2:3], s[12:13], 0xbb0
	s_clause 0xf
	global_load_b32 v104, v39, s[2:3] offset:176
	global_load_b32 v105, v39, s[2:3] offset:352
	;; [unrolled: 1-line block ×16, first 2 shown]
	ds_load_b32 v89, v43
	s_wait_dscnt 0x0
	v_lshrrev_b32_e32 v90, 16, v89
	s_wait_loadcnt 0xf
	v_lshrrev_b32_e32 v120, 16, v104
	s_wait_loadcnt 0xe
	;; [unrolled: 2-line block ×12, first 2 shown]
	v_lshrrev_b32_e32 v131, 16, v115
	v_lshrrev_b32_e32 v91, 16, v88
	s_wait_loadcnt 0x3
	v_lshrrev_b32_e32 v132, 16, v116
	s_wait_loadcnt 0x2
	;; [unrolled: 2-line block ×4, first 2 shown]
	v_lshrrev_b32_e32 v135, 16, v119
	v_mul_f16_e32 v92, v90, v91
	v_mul_f16_e32 v91, v89, v91
	s_delay_alu instid0(VALU_DEP_2) | instskip(NEXT) | instid1(VALU_DEP_2)
	v_fma_f16 v89, v89, v88, -v92
	v_fmac_f16_e32 v91, v90, v88
	s_delay_alu instid0(VALU_DEP_1)
	v_pack_b32_f16 v88, v89, v91
	ds_store_b32 v43, v88
	ds_load_2addr_b32 v[88:89], v43 offset0:44 offset1:88
	ds_load_2addr_b32 v[90:91], v43 offset0:132 offset1:176
	;; [unrolled: 1-line block ×8, first 2 shown]
	s_wait_dscnt 0x7
	v_lshrrev_b32_e32 v136, 16, v88
	v_lshrrev_b32_e32 v138, 16, v89
	s_wait_dscnt 0x6
	v_lshrrev_b32_e32 v140, 16, v90
	v_lshrrev_b32_e32 v142, 16, v91
	s_wait_dscnt 0x5
	v_lshrrev_b32_e32 v144, 16, v92
	v_lshrrev_b32_e32 v146, 16, v93
	s_wait_dscnt 0x4
	v_lshrrev_b32_e32 v148, 16, v94
	v_lshrrev_b32_e32 v150, 16, v95
	s_wait_dscnt 0x3
	v_lshrrev_b32_e32 v152, 16, v96
	v_lshrrev_b32_e32 v154, 16, v97
	v_mul_f16_e64 v137, v88, v120
	v_mul_f16_e64 v139, v89, v121
	s_wait_dscnt 0x2
	v_lshrrev_b32_e32 v156, 16, v98
	v_lshrrev_b32_e32 v158, 16, v99
	s_wait_dscnt 0x1
	v_lshrrev_b32_e32 v160, 16, v100
	v_lshrrev_b32_e32 v162, 16, v101
	;; [unrolled: 3-line block ×3, first 2 shown]
	v_mul_f16_e64 v120, v136, v120
	v_mul_f16_e64 v121, v138, v121
	;; [unrolled: 1-line block ×24, first 2 shown]
	v_fmac_f16_e64 v137, v136, v104
	v_fmac_f16_e64 v139, v138, v105
	v_mul_f16_e64 v130, v156, v130
	v_mul_f16_e64 v131, v158, v131
	;; [unrolled: 1-line block ×6, first 2 shown]
	v_fma_f16 v88, v88, v104, -v120
	v_fma_f16 v89, v89, v105, -v121
	v_fmac_f16_e64 v141, v140, v106
	v_fmac_f16_e64 v143, v142, v107
	v_fma_f16 v90, v90, v106, -v122
	v_fma_f16 v91, v91, v107, -v123
	v_fmac_f16_e64 v145, v144, v108
	v_fmac_f16_e64 v147, v146, v109
	;; [unrolled: 4-line block ×5, first 2 shown]
	v_fmac_f16_e64 v161, v160, v116
	v_fmac_f16_e64 v163, v162, v117
	;; [unrolled: 1-line block ×4, first 2 shown]
	v_fma_f16 v98, v98, v114, -v130
	v_fma_f16 v99, v99, v115, -v131
	;; [unrolled: 1-line block ×6, first 2 shown]
	v_pack_b32_f16 v88, v88, v137
	v_pack_b32_f16 v89, v89, v139
	;; [unrolled: 1-line block ×16, first 2 shown]
	ds_store_2addr_b32 v43, v88, v89 offset0:44 offset1:88
	ds_store_2addr_b32 v43, v90, v91 offset0:132 offset1:176
	;; [unrolled: 1-line block ×8, first 2 shown]
.LBB0_13:
	s_wait_alu 0xfffe
	s_or_b32 exec_lo, exec_lo, s1
	global_wb scope:SCOPE_SE
	s_wait_dscnt 0x0
	s_barrier_signal -1
	s_barrier_wait -1
	global_inv scope:SCOPE_SE
	s_and_saveexec_b32 s1, vcc_lo
	s_cbranch_execz .LBB0_15
; %bb.14:
	v_add_nc_u32_e32 v18, 0x200, v43
	v_add_nc_u32_e32 v19, 0x400, v43
	ds_load_b32 v74, v43
	ds_load_2addr_b32 v[28:29], v43 offset0:44 offset1:88
	ds_load_2addr_b32 v[34:35], v43 offset0:132 offset1:176
	;; [unrolled: 1-line block ×3, first 2 shown]
	v_add_nc_u32_e32 v18, 0x600, v43
	v_add_nc_u32_e32 v36, 0x800, v43
	ds_load_2addr_b32 v[32:33], v19 offset0:52 offset1:96
	ds_load_2addr_b32 v[26:27], v19 offset0:140 offset1:184
	;; [unrolled: 1-line block ×5, first 2 shown]
	s_wait_dscnt 0x8
	v_lshrrev_b32_e32 v75, 16, v74
	s_wait_dscnt 0x7
	v_lshrrev_b32_e32 v85, 16, v28
	v_lshrrev_b32_e32 v84, 16, v29
	s_wait_dscnt 0x6
	v_lshrrev_b32_e32 v83, 16, v34
	;; [unrolled: 3-line block ×8, first 2 shown]
	v_lshrrev_b32_e32 v44, 16, v19
.LBB0_15:
	s_wait_alu 0xfffe
	s_or_b32 exec_lo, exec_lo, s1
	s_delay_alu instid0(VALU_DEP_1)
	v_sub_f16_e32 v108, v85, v44
	v_add_f16_e32 v112, v44, v85
	v_add_f16_e32 v86, v19, v28
	v_sub_f16_e32 v87, v28, v19
	v_sub_f16_e32 v109, v84, v45
	v_mul_f16_e32 v114, 0xba62, v108
	v_mul_f16_e32 v37, 0xbbdd, v112
	v_mul_f16_e32 v111, 0xb8d2, v112
	v_add_f16_e32 v115, v45, v84
	v_mul_f16_e32 v124, 0xb836, v108
	v_fma_f16 v88, v86, 0xb8d2, -v114
	v_mul_f16_e64 v130, 0xbacd, v112
	v_fmamk_f16 v89, v87, 0xba62, v111
	v_mul_f16_e32 v117, 0x3bb2, v109
	v_sub_f16_e32 v94, v29, v18
	v_add_f16_e32 v93, v74, v88
	v_fmamk_f16 v88, v87, 0x31e1, v37
	v_mul_f16_e64 v128, 0xb461, v115
	v_mul_f16_e32 v36, 0xb1e1, v108
	v_fma_f16 v90, v86, 0xbacd, -v124
	v_fma_f16 v91, 0xb836, v87, v130
	v_add_f16_e32 v95, v75, v88
	v_add_f16_e32 v88, v18, v29
	;; [unrolled: 1-line block ×3, first 2 shown]
	v_mul_f16_e64 v132, 0x3b29, v109
	v_fma_f16 v97, 0x3bb2, v94, v128
	v_mul_f16_e64 v134, 0x3722, v115
	v_fma_f16 v96, v88, 0xb461, -v117
	v_fmamk_f16 v92, v86, 0xbbdd, v36
	v_add_f16_e32 v90, v74, v90
	v_add_f16_e32 v91, v75, v91
	v_mul_f16_e32 v98, 0x35c8, v109
	v_add_f16_e32 v93, v96, v93
	v_fma_f16 v96, v88, 0x3722, -v132
	v_add_f16_e32 v89, v97, v89
	v_fma_f16 v97, 0x3b29, v94, v134
	v_mul_f16_e32 v100, 0x3b76, v115
	v_sub_f16_e32 v110, v83, v46
	v_add_f16_e32 v92, v74, v92
	v_fmac_f16_e32 v37, 0xb1e1, v87
	v_fmamk_f16 v99, v88, 0x3b76, v98
	v_add_f16_e32 v90, v96, v90
	v_add_f16_e32 v91, v97, v91
	v_fmamk_f16 v97, v94, 0xb5c8, v100
	v_add_f16_e32 v96, v21, v34
	v_mul_f16_e32 v120, 0xb5c8, v110
	v_add_f16_e32 v118, v46, v83
	v_fma_f16 v36, v86, 0xbbdd, -v36
	v_add_f16_e32 v37, v75, v37
	v_add_f16_e32 v92, v99, v92
	v_fmac_f16_e32 v100, 0x35c8, v94
	v_add_f16_e32 v95, v97, v95
	v_fma_f16 v99, v96, 0x3b76, -v120
	v_sub_f16_e32 v97, v34, v21
	v_mul_f16_e64 v133, 0x3b76, v118
	v_add_f16_e32 v36, v74, v36
	v_fma_f16 v98, v88, 0x3b76, -v98
	v_add_f16_e32 v37, v100, v37
	v_add_f16_e32 v93, v99, v93
	v_mul_f16_e64 v136, 0xbbf7, v110
	v_fma_f16 v99, 0xb5c8, v97, v133
	v_mul_f16_e32 v100, 0xbacd, v118
	v_add_f16_e32 v36, v98, v36
	v_mul_f16_e32 v98, 0xb836, v110
	v_fma_f16 v101, v96, 0x2de8, -v136
	v_add_f16_e32 v89, v99, v89
	v_fmamk_f16 v99, v97, 0x3836, v100
	v_sub_f16_e32 v113, v82, v47
	v_add_f16_e32 v121, v47, v82
	v_mul_f16_e64 v138, 0x2de8, v118
	v_fmamk_f16 v103, v96, 0xbacd, v98
	v_add_f16_e32 v90, v101, v90
	v_add_f16_e32 v95, v99, v95
	v_fma_f16 v101, v96, 0xbacd, -v98
	v_add_f16_e32 v98, v20, v35
	v_mul_f16_e64 v131, 0xb836, v113
	v_fmac_f16_e32 v100, 0xb836, v97
	v_sub_f16_e32 v99, v35, v20
	v_mul_f16_e64 v137, 0xbacd, v121
	v_fma_f16 v102, 0xbbf7, v97, v138
	v_add_f16_e32 v36, v101, v36
	v_fma_f16 v101, v98, 0xbacd, -v131
	v_add_f16_e32 v37, v100, v37
	v_mul_f16_e64 v139, 0x3a62, v113
	v_fma_f16 v100, 0xb836, v99, v137
	v_mul_f16_e64 v142, 0xb8d2, v121
	v_add_f16_e32 v91, v102, v91
	v_add_f16_e32 v92, v103, v92
	;; [unrolled: 1-line block ×3, first 2 shown]
	v_mul_f16_e32 v101, 0x3964, v113
	v_fma_f16 v102, v98, 0xb8d2, -v139
	v_add_f16_e32 v89, v100, v89
	v_fma_f16 v100, 0x3a62, v99, v142
	v_mul_f16_e32 v103, 0x39e9, v121
	v_sub_f16_e32 v116, v81, v49
	v_fmamk_f16 v104, v98, 0x39e9, v101
	v_add_f16_e32 v90, v102, v90
	v_add_f16_e32 v91, v100, v91
	v_fmamk_f16 v102, v99, 0xb964, v103
	v_add_f16_e32 v100, v23, v30
	v_mul_f16_e64 v135, 0x3bf7, v116
	v_fma_f16 v101, v98, 0x39e9, -v101
	v_add_f16_e32 v126, v49, v81
	v_add_f16_e32 v95, v102, v95
	v_fmac_f16_e32 v103, 0x3964, v99
	v_fma_f16 v102, v100, 0x2de8, -v135
	v_add_f16_e32 v36, v101, v36
	v_sub_f16_e32 v101, v30, v23
	v_mul_f16_e64 v141, 0x2de8, v126
	v_add_f16_e32 v37, v103, v37
	v_add_f16_e32 v93, v102, v93
	v_mul_f16_e64 v144, 0xb5c8, v116
	v_mul_f16_e32 v103, 0xba62, v116
	v_fma_f16 v102, 0x3bf7, v101, v141
	v_add_f16_e32 v92, v104, v92
	v_mul_f16_e64 v147, 0x3b76, v126
	v_mul_f16_e32 v104, 0xb8d2, v126
	v_fma_f16 v105, v100, 0x3b76, -v144
	v_add_f16_e32 v89, v102, v89
	v_fmamk_f16 v102, v100, 0xb8d2, v103
	v_sub_f16_e32 v119, v80, v73
	v_add_f16_e32 v123, v73, v80
	v_fma_f16 v106, 0xb5c8, v101, v147
	v_fmamk_f16 v107, v101, 0x3a62, v104
	v_add_f16_e32 v90, v105, v90
	v_add_f16_e32 v92, v102, v92
	;; [unrolled: 1-line block ×3, first 2 shown]
	v_mul_f16_e64 v140, 0xb964, v119
	v_fma_f16 v105, v100, 0xb8d2, -v103
	v_fmac_f16_e32 v104, 0xba62, v101
	v_sub_f16_e32 v103, v31, v22
	v_mul_f16_e64 v145, 0x39e9, v123
	v_add_f16_e32 v91, v106, v91
	v_fma_f16 v106, v102, 0x39e9, -v140
	v_add_f16_e32 v37, v104, v37
	v_mul_f16_e64 v149, 0xb1e1, v119
	v_fma_f16 v104, 0xb964, v103, v145
	v_mul_f16_e64 v150, 0xbbdd, v123
	v_add_f16_e32 v95, v107, v95
	v_add_f16_e32 v36, v105, v36
	;; [unrolled: 1-line block ×3, first 2 shown]
	v_mul_f16_e32 v105, 0x3b29, v119
	v_fma_f16 v106, v102, 0xbbdd, -v149
	v_add_f16_e32 v89, v104, v89
	v_mul_f16_e32 v107, 0x3722, v123
	v_fma_f16 v104, 0xb1e1, v103, v150
	v_sub_f16_e32 v122, v79, v76
	v_fmamk_f16 v125, v102, 0x3722, v105
	v_add_f16_e32 v90, v106, v90
	v_fmamk_f16 v106, v103, 0xbb29, v107
	v_add_f16_e32 v91, v104, v91
	v_add_f16_e32 v104, v27, v32
	v_mul_f16_e64 v143, 0xb1e1, v122
	v_add_f16_e32 v127, v76, v79
	v_add_f16_e32 v92, v125, v92
	v_add_f16_e32 v95, v106, v95
	v_fma_f16 v106, v102, 0x3722, -v105
	v_fmac_f16_e32 v107, 0x3b29, v103
	v_fma_f16 v125, v104, 0xbbdd, -v143
	v_sub_f16_e32 v105, v32, v27
	v_mul_f16_e64 v148, 0xbbdd, v127
	v_mul_f16_e64 v152, 0x3964, v122
	v_add_f16_e32 v36, v106, v36
	v_add_f16_e32 v37, v107, v37
	;; [unrolled: 1-line block ×3, first 2 shown]
	v_fma_f16 v106, 0xb1e1, v105, v148
	v_mul_f16_e32 v107, 0xbbb2, v122
	v_mul_f16_e64 v155, 0xb461, v127
	v_fma_f16 v125, v104, 0x39e9, -v152
	v_mul_f16_e64 v153, 0x39e9, v127
	v_add_f16_e64 v156, v106, v89
	v_fmamk_f16 v106, v104, 0xb461, v107
	v_fma_f16 v129, 0x3bb2, v105, v155
	v_add_f16_e32 v90, v125, v90
	v_sub_f16_e32 v125, v78, v77
	v_fma_f16 v89, 0x3964, v105, v153
	v_add_f16_e64 v157, v106, v92
	v_add_f16_e64 v95, v129, v95
	v_add_f16_e32 v106, v26, v33
	v_mul_f16_e64 v146, 0x3b29, v125
	v_add_f16_e64 v129, v77, v78
	v_add_f16_e32 v91, v89, v91
	v_fma_f16 v89, v104, 0xb461, -v107
	v_fmac_f16_e64 v155, 0xbbb2, v105
	v_sub_f16_e32 v107, v33, v26
	v_fma_f16 v92, v106, 0x3722, -v146
	v_mul_f16_e64 v151, 0x3722, v129
	v_mul_f16_e64 v154, 0xbbb2, v125
	v_add_f16_e32 v36, v89, v36
	v_add_f16_e64 v158, v155, v37
	v_add_f16_e32 v89, v92, v93
	v_fma_f16 v37, 0x3b29, v107, v151
	v_fma_f16 v93, v106, 0xb461, -v154
	v_mul_f16_e64 v155, 0xb461, v129
	v_mul_f16_e64 v159, 0x3bf7, v125
	v_mul_f16_e64 v160, 0x2de8, v129
	v_add_f16_e64 v92, v37, v156
	v_add_f16_e32 v37, v93, v90
	v_fma_f16 v90, 0xbbb2, v107, v155
	v_fma_f16 v156, 0x2de8, v106, v159
	;; [unrolled: 1-line block ×3, first 2 shown]
	v_fma_f16 v159, v106, 0x2de8, -v159
	v_fmac_f16_e64 v160, 0x3bf7, v107
	v_add_f16_e32 v93, v90, v91
	v_add_f16_e64 v90, v156, v157
	v_add_f16_e64 v91, v161, v95
	v_add_f16_e64 v36, v159, v36
	v_add_f16_e64 v95, v160, v158
	global_wb scope:SCOPE_SE
	s_barrier_signal -1
	s_barrier_wait -1
	global_inv scope:SCOPE_SE
	s_and_saveexec_b32 s1, vcc_lo
	s_cbranch_execz .LBB0_17
; %bb.16:
	v_mul_f16_e64 v159, 0xb836, v87
	v_mul_f16_e64 v158, 0xbacd, v86
	;; [unrolled: 1-line block ×5, first 2 shown]
	v_sub_f16_e64 v130, v130, v159
	v_add_f16_e64 v124, v158, v124
	v_sub_f16_e64 v134, v134, v163
	v_mul_f16_e64 v166, 0x2de8, v96
	v_mul_f16_e64 v171, 0x3a62, v99
	v_add_f16_e64 v130, v75, v130
	v_add_f16_e32 v124, v74, v124
	v_add_f16_e64 v132, v162, v132
	v_mul_f16_e64 v157, 0xba62, v87
	v_mul_f16_e64 v170, 0xb8d2, v98
	v_add_f16_e64 v130, v134, v130
	v_sub_f16_e64 v134, v138, v167
	v_mul_f16_e64 v175, 0xb5c8, v101
	v_add_f16_e64 v124, v132, v124
	v_add_f16_e64 v132, v166, v136
	v_mul_f16_e64 v161, 0x3bb2, v94
	v_add_f16_e64 v130, v134, v130
	v_sub_f16_e64 v134, v142, v171
	v_mul_f16_e64 v174, 0x3b76, v100
	v_mul_f16_e64 v178, 0xb1e1, v103
	v_sub_f16_e64 v111, v111, v157
	v_add_f16_e64 v124, v132, v124
	v_add_f16_e64 v130, v134, v130
	v_sub_f16_e64 v134, v147, v175
	v_add_f16_e64 v132, v170, v139
	v_mul_f16_e64 v165, 0xb5c8, v97
	v_mul_f16_e64 v177, 0xbbdd, v102
	;; [unrolled: 1-line block ×3, first 2 shown]
	v_add_f16_e64 v130, v134, v130
	v_sub_f16_e64 v134, v150, v178
	v_add_f16_e32 v111, v75, v111
	v_sub_f16_e64 v128, v128, v161
	v_add_f16_e64 v124, v132, v124
	v_add_f16_e64 v132, v174, v144
	v_mul_f16_e64 v156, 0xb8d2, v86
	v_mul_f16_e64 v169, 0xb836, v99
	;; [unrolled: 1-line block ×4, first 2 shown]
	v_add_f16_e64 v130, v134, v130
	v_sub_f16_e64 v134, v153, v138
	v_add_f16_e64 v111, v128, v111
	v_sub_f16_e64 v128, v133, v165
	v_add_f16_e64 v124, v132, v124
	v_add_f16_e64 v132, v177, v149
	v_mul_f16_e64 v160, 0xb461, v88
	v_mul_f16_e64 v173, 0x3bf7, v101
	v_mul_f16_e64 v162, 0xb461, v106
	v_add_f16_e64 v130, v134, v130
	v_sub_f16_e64 v133, v155, v136
	v_add_f16_e64 v128, v128, v111
	v_sub_f16_e64 v134, v137, v169
	v_add_f16_e64 v124, v132, v124
	v_add_f16_e64 v132, v180, v152
	;; [unrolled: 1-line block ×3, first 2 shown]
	v_mul_f16_e64 v164, 0x3b76, v96
	v_mul_f16_e64 v176, 0xb964, v103
	v_add_f16_e64 v111, v133, v130
	v_add_f16_e64 v128, v134, v128
	v_sub_f16_e64 v130, v141, v173
	v_add_f16_e64 v124, v132, v124
	v_add_f16_e64 v132, v162, v154
	;; [unrolled: 1-line block ×4, first 2 shown]
	v_mul_f16_e64 v168, 0xbacd, v98
	v_mul_f16_e64 v179, 0xb1e1, v105
	v_add_f16_e64 v128, v130, v128
	v_sub_f16_e64 v130, v145, v176
	v_add_f16_e64 v114, v132, v124
	v_mul_f16_e64 v132, 0xb461, v112
	v_add_f16_e64 v117, v117, v133
	v_add_f16_e64 v120, v164, v120
	v_mul_f16_e64 v172, 0x2de8, v100
	v_add_f16_e64 v124, v130, v128
	v_sub_f16_e64 v128, v148, v179
	v_fma_f16 v130, 0x3bb2, v87, v132
	v_mul_f16_e64 v133, 0xbacd, v115
	v_add_f16_e32 v117, v120, v117
	v_add_f16_e64 v120, v168, v131
	v_mul_f16_e64 v159, 0x39e9, v102
	v_mul_f16_e64 v142, 0x3b29, v107
	v_add_f16_e64 v124, v128, v124
	v_add_f16_e64 v128, v75, v130
	v_fma_f16 v130, 0xb836, v94, v133
	v_mul_f16_e64 v134, 0x39e9, v118
	v_add_f16_e32 v117, v120, v117
	v_add_f16_e64 v120, v172, v135
	v_mul_f16_e64 v163, 0xbbdd, v104
	v_sub_f16_e64 v131, v151, v142
	v_add_f16_e64 v128, v130, v128
	v_fma_f16 v130, 0xb964, v97, v134
	v_mul_f16_e64 v135, 0x3722, v121
	v_add_f16_e32 v120, v120, v117
	v_add_f16_e64 v136, v159, v140
	v_add_f16_e64 v117, v131, v124
	;; [unrolled: 1-line block ×3, first 2 shown]
	v_fma_f16 v128, 0x3b29, v99, v135
	v_mul_f16_e64 v137, 0xbbdd, v126
	v_add_f16_e64 v120, v136, v120
	v_add_f16_e64 v130, v163, v143
	v_mul_f16_e64 v136, 0xbbb2, v108
	v_mul_f16_e64 v158, 0x3722, v106
	v_add_f16_e64 v124, v128, v124
	v_fma_f16 v128, 0x31e1, v101, v137
	v_mul_f16_e64 v138, 0x2de8, v123
	v_add_f16_e64 v120, v130, v120
	v_fma_f16 v130, 0xb461, v86, v136
	;; [unrolled: 3-line block ×4, first 2 shown]
	v_mul_f16_e64 v141, 0x3964, v110
	v_add_f16_e64 v142, v158, v146
	v_add_f16_e64 v124, v128, v124
	v_fma_f16 v128, 0x35c8, v105, v140
	v_add_f16_e64 v130, v131, v130
	v_fma_f16 v131, 0x39e9, v96, v141
	v_mul_f16_e64 v143, 0xbb29, v113
	v_add_f16_e64 v120, v142, v120
	v_mul_f16_e64 v142, 0x2de8, v112
	v_add_f16_e64 v124, v128, v124
	v_add_f16_e64 v128, v131, v130
	v_fma_f16 v130, 0x3722, v98, v143
	v_mul_f16_e64 v144, 0xb1e1, v116
	v_fma_f16 v131, 0x3bf7, v87, v142
	v_mul_f16_e64 v146, 0xbbdd, v115
	v_mul_f16_e64 v145, 0xb8d2, v129
	v_add_f16_e64 v128, v130, v128
	v_fma_f16 v130, 0xbbdd, v100, v144
	v_mul_f16_e64 v147, 0x3bf7, v119
	v_add_f16_e64 v131, v75, v131
	v_fma_f16 v148, 0x31e1, v94, v146
	;; [unrolled: 3-line block ×4, first 2 shown]
	v_mul_f16_e64 v151, 0x3b76, v121
	v_fma_f16 v152, 0x3a62, v107, v145
	v_add_f16_e64 v128, v130, v128
	v_fma_f16 v130, 0x3b76, v104, v150
	v_add_f16_e64 v131, v148, v131
	v_fma_f16 v148, 0xb5c8, v99, v151
	v_mul_f16_e64 v153, 0x3722, v126
	v_add_f16_e64 v124, v152, v124
	v_mul_f16_e64 v152, 0xbbf7, v108
	v_mul_f16_e64 v154, 0xba62, v125
	v_add_f16_e64 v128, v130, v128
	v_add_f16_e64 v130, v148, v131
	v_fma_f16 v131, 0x3b29, v101, v153
	v_mul_f16_e64 v148, 0xbacd, v123
	v_fma_f16 v155, 0x2de8, v86, v152
	v_mul_f16_e64 v156, 0xb1e1, v109
	v_fma_f16 v160, 0xb8d2, v106, v154
	v_add_f16_e64 v130, v131, v130
	v_fma_f16 v131, 0x3836, v103, v148
	v_mul_f16_e64 v157, 0xb8d2, v127
	v_add_f16_e64 v155, v74, v155
	v_fma_f16 v158, 0xbbdd, v88, v156
	v_mul_f16_e64 v159, 0x3bb2, v110
	v_add_f16_e64 v128, v160, v128
	v_mul_f16_e64 v160, 0x3722, v112
	v_add_f16_e64 v130, v131, v130
	v_fma_f16 v131, 0xba62, v105, v157
	v_add_f16_e64 v155, v158, v155
	v_fma_f16 v158, 0xb461, v96, v159
	v_mul_f16_e64 v161, 0x35c8, v113
	v_fma_f16 v163, 0x3b29, v87, v160
	v_mul_f16_e64 v164, 0xb8d2, v115
	v_add_f16_e64 v130, v131, v130
	v_add_f16_e64 v131, v158, v155
	v_fma_f16 v155, 0x3b76, v98, v161
	v_mul_f16_e64 v158, 0xbb29, v116
	v_add_f16_e64 v163, v75, v163
	v_fma_f16 v166, 0x3a62, v94, v164
	v_mul_f16_e64 v167, 0xbbdd, v118
	v_mul_f16_e64 v162, 0x39e9, v129
	v_add_f16_e64 v131, v155, v131
	v_fma_f16 v155, 0x3722, v100, v158
	v_mul_f16_e64 v165, 0xb836, v119
	v_add_f16_e64 v163, v166, v163
	v_fma_f16 v166, 0xb1e1, v97, v167
	;; [unrolled: 3-line block ×3, first 2 shown]
	v_mul_f16_e64 v168, 0x3a62, v122
	v_fma_f16 v170, 0xb964, v107, v162
	v_add_f16_e64 v163, v166, v163
	v_fma_f16 v166, 0xbbb2, v99, v169
	v_mul_f16_e64 v171, 0x39e9, v126
	v_add_f16_e64 v131, v155, v131
	v_fma_f16 v155, 0xb8d2, v104, v168
	v_add_f16_e64 v130, v170, v130
	v_add_f16_e64 v163, v166, v163
	v_fma_f16 v166, 0xb964, v101, v171
	v_mul_f16_e64 v170, 0x3b76, v123
	v_add_f16_e64 v131, v155, v131
	v_mul_f16_e64 v155, 0xbb29, v108
	v_mul_f16_e64 v175, 0x2de8, v127
	v_add_f16_e64 v163, v166, v163
	v_fma_f16 v166, 0x35c8, v103, v170
	v_mul_f16_e64 v174, 0xba62, v109
	v_fma_f16 v173, 0x3722, v86, v155
	v_mul_f16_e64 v172, 0x3964, v125
	v_mul_f16_e64 v177, 0x31e1, v110
	v_add_f16_e64 v163, v166, v163
	v_fma_f16 v166, 0x3bf7, v105, v175
	v_add_f16_e64 v173, v74, v173
	v_fma_f16 v176, 0xb8d2, v88, v174
	v_add_f16_e32 v28, v28, v74
	v_fma_f16 v178, 0x39e9, v106, v172
	v_add_f16_e64 v163, v166, v163
	v_mul_f16_e64 v166, 0x39e9, v112
	v_mul_f16_e32 v112, 0x3b76, v112
	v_add_f16_e64 v173, v176, v173
	v_fma_f16 v176, 0xbbdd, v96, v177
	v_mul_f16_e64 v179, 0x3bb2, v113
	v_mul_f16_e64 v182, 0x2de8, v115
	v_fma_f16 v198, 0x35c8, v87, v112
	v_mul_f16_e32 v115, 0x39e9, v115
	v_add_f16_e32 v28, v29, v28
	v_add_f16_e64 v131, v178, v131
	v_add_f16_e64 v173, v176, v173
	v_fma_f16 v176, 0xb461, v98, v179
	v_mul_f16_e64 v178, 0x3964, v116
	v_mul_f16_e64 v185, 0xb8d2, v118
	v_add_f16_e64 v198, v75, v198
	v_fma_f16 v200, 0x3964, v94, v115
	v_mul_f16_e32 v118, 0x3722, v118
	v_add_f16_e32 v28, v34, v28
	v_mul_f16_e64 v180, 0xbacd, v129
	v_add_f16_e64 v173, v176, v173
	v_fma_f16 v176, 0x39e9, v100, v178
	v_mul_f16_e64 v183, 0xb5c8, v119
	v_mul_f16_e64 v187, 0xbbdd, v121
	v_add_f16_e64 v198, v200, v198
	v_fma_f16 v200, 0x3b29, v97, v118
	v_mul_f16_e32 v121, 0x2de8, v121
	v_add_f16_e32 v85, v85, v75
	v_add_f16_e32 v28, v35, v28
	v_add_f16_e64 v173, v176, v173
	v_fma_f16 v176, 0x3b76, v102, v183
	v_mul_f16_e64 v186, 0xbbf7, v122
	v_fma_f16 v188, 0x3836, v107, v180
	v_mul_f16_e64 v189, 0xbacd, v126
	v_add_f16_e64 v198, v200, v198
	v_fma_f16 v200, 0x3bf7, v99, v121
	v_mul_f16_e32 v126, 0xb461, v126
	v_add_f16_e32 v29, v84, v85
	v_add_f16_e32 v28, v30, v28
	v_add_f16_e64 v173, v176, v173
	v_fma_f16 v176, 0x2de8, v104, v186
	v_add_f16_e64 v163, v188, v163
	v_mul_f16_e64 v188, 0xb461, v123
	v_add_f16_e64 v198, v200, v198
	v_fma_f16 v200, 0x3bb2, v101, v126
	v_mul_f16_e32 v123, 0xb8d2, v123
	v_add_f16_e32 v29, v83, v29
	v_add_f16_e32 v28, v31, v28
	v_add_f16_e64 v173, v176, v173
	v_mul_f16_e64 v176, 0xb964, v108
	v_add_f16_e64 v198, v200, v198
	v_fmamk_f16 v84, v103, 0x3a62, v123
	v_mul_f16_e32 v108, 0xb5c8, v108
	v_add_f16_e32 v29, v82, v29
	v_add_f16_e32 v28, v32, v28
	v_mul_f16_e32 v35, 0xb964, v109
	v_add_f16_e64 v34, v84, v198
	v_fmamk_f16 v84, v86, 0x3b76, v108
	v_add_f16_e32 v29, v81, v29
	v_add_f16_e32 v28, v33, v28
	v_fmamk_f16 v30, v88, 0x39e9, v35
	v_mul_f16_e32 v81, 0xbb29, v110
	v_add_f16_e32 v84, v74, v84
	v_add_f16_e32 v29, v80, v29
	;; [unrolled: 1-line block ×3, first 2 shown]
	v_mul_f16_e32 v80, 0xbbf7, v113
	v_fmamk_f16 v31, v96, 0x3722, v81
	v_add_f16_e32 v30, v30, v84
	v_add_f16_e32 v29, v79, v29
	;; [unrolled: 1-line block ×3, first 2 shown]
	v_fmac_f16_e64 v132, 0xbbb2, v87
	v_fmac_f16_e64 v133, 0x3836, v94
	v_add_f16_e32 v30, v31, v30
	v_fmamk_f16 v31, v98, 0x2de8, v80
	v_add_f16_e32 v29, v78, v29
	v_mul_f16_e32 v78, 0xbbb2, v116
	v_add_f16_e32 v22, v22, v26
	v_fmac_f16_e64 v134, 0x3964, v97
	v_add_f16_e32 v30, v31, v30
	v_add_f16_e32 v28, v77, v29
	v_fmamk_f16 v29, v100, 0xb461, v78
	v_mul_f16_e32 v31, 0xba62, v119
	v_add_f16_e32 v22, v23, v22
	v_fmac_f16_e64 v135, 0xbb29, v99
	v_add_f16_e32 v27, v76, v28
	v_add_f16_e64 v28, v75, v132
	v_add_f16_e32 v29, v29, v30
	v_fmamk_f16 v30, v102, 0xb8d2, v31
	v_add_f16_e32 v20, v20, v22
	v_add_f16_e32 v26, v73, v27
	v_add_f16_e64 v27, v133, v28
	v_mul_f16_e32 v83, 0xbacd, v127
	v_add_f16_e32 v28, v30, v29
	v_mul_f16_e32 v29, 0xb836, v122
	v_add_f16_e32 v20, v21, v20
	v_add_f16_e32 v23, v49, v26
	v_add_f16_e64 v26, v134, v27
	v_mul_f16_e32 v30, 0xb1e1, v125
	v_fmamk_f16 v27, v104, 0xbacd, v29
	v_add_f16_e32 v18, v18, v20
	v_add_f16_e32 v22, v47, v23
	v_add_f16_e64 v23, v135, v26
	v_fmac_f16_e64 v142, 0xbbf7, v87
	v_add_f16_e32 v26, v27, v28
	v_fmamk_f16 v27, v106, 0xbbdd, v30
	v_add_f16_e32 v18, v19, v18
	v_fma_f16 v19, v86, 0xb461, -v136
	v_fmamk_f16 v82, v105, 0x3836, v83
	v_mul_f16_e64 v32, 0xbbdd, v129
	v_add_f16_e32 v20, v27, v26
	v_fma_f16 v26, v88, 0xbacd, -v139
	v_add_f16_e32 v19, v74, v19
	v_add_f16_e64 v27, v75, v142
	v_fmac_f16_e64 v146, 0xb1e1, v94
	v_add_f16_e32 v34, v82, v34
	v_fmamk_f16 v33, v107, 0x31e1, v32
	v_fmac_f16_e64 v137, 0xb1e1, v101
	v_fma_f16 v28, v86, 0x2de8, -v152
	v_add_f16_e32 v19, v26, v19
	v_fma_f16 v26, v96, 0x39e9, -v141
	v_add_f16_e64 v27, v146, v27
	v_fmac_f16_e64 v149, 0x3bb2, v97
	v_add_f16_e32 v21, v46, v22
	v_add_f16_e64 v22, v137, v23
	v_add_f16_e32 v23, v33, v34
	v_add_f16_e32 v28, v74, v28
	v_fma_f16 v33, v88, 0xbbdd, -v156
	v_add_f16_e32 v19, v26, v19
	v_fma_f16 v26, v98, 0x3722, -v143
	v_add_f16_e64 v27, v149, v27
	v_fmac_f16_e64 v151, 0x35c8, v99
	v_add_f16_e32 v28, v33, v28
	v_fma_f16 v33, v96, 0xb461, -v159
	v_add_f16_e32 v19, v26, v19
	v_fma_f16 v26, v100, 0xbbdd, -v144
	v_add_f16_e64 v27, v151, v27
	v_fmac_f16_e64 v153, 0xbb29, v101
	;; [unrolled: 6-line block ×5, first 2 shown]
	v_add_f16_e32 v21, v45, v21
	v_add_f16_e32 v28, v33, v28
	v_fma_f16 v33, v104, 0xb8d2, -v168
	v_add_f16_e32 v19, v26, v19
	v_fmac_f16_e64 v160, 0xbb29, v87
	v_add_f16_e64 v26, v162, v27
	v_fma_f16 v27, v86, 0x3722, -v155
	v_fma_f16 v181, 0x3964, v87, v166
	v_add_f16_e32 v21, v44, v21
	v_add_f16_e32 v28, v33, v28
	v_fma_f16 v33, v106, 0x39e9, -v172
	v_add_f16_e64 v34, v75, v160
	v_fmac_f16_e64 v164, 0xba62, v94
	v_add_f16_e32 v27, v74, v27
	v_fma_f16 v44, v88, 0xb8d2, -v174
	v_fmac_f16_e64 v166, 0xb964, v87
	v_add_f16_e64 v181, v75, v181
	v_fma_f16 v184, 0x3bf7, v94, v182
	v_add_f16_e32 v28, v33, v28
	v_add_f16_e64 v33, v164, v34
	v_add_f16_e32 v27, v44, v27
	v_fma_f16 v34, v96, 0xbbdd, -v177
	v_add_f16_e64 v44, v75, v166
	v_fmac_f16_e64 v182, 0xbbf7, v94
	v_add_f16_e64 v181, v184, v181
	v_fma_f16 v184, 0x3a62, v97, v185
	v_add_f16_e32 v27, v34, v27
	v_fma_f16 v34, v98, 0xb461, -v179
	v_add_f16_e64 v44, v182, v44
	v_fmac_f16_e64 v185, 0xba62, v97
	v_add_f16_e64 v181, v184, v181
	v_fma_f16 v184, 0x31e1, v99, v187
	;; [unrolled: 6-line block ×3, first 2 shown]
	v_fma_f16 v191, 0x39e9, v86, v176
	v_mul_f16_e64 v192, 0xbbf7, v109
	v_add_f16_e32 v27, v34, v27
	v_fma_f16 v34, v102, 0x3b76, -v183
	v_add_f16_e64 v44, v187, v44
	v_fmac_f16_e64 v189, 0x3836, v101
	v_add_f16_e64 v181, v184, v181
	v_fma_f16 v184, 0xbbb2, v103, v188
	v_mul_f16_e64 v193, 0x3722, v127
	v_add_f16_e64 v191, v74, v191
	v_fma_f16 v194, 0x2de8, v88, v192
	v_mul_f16_e64 v195, 0xba62, v110
	v_mul_f16_e64 v190, 0xb836, v125
	v_add_f16_e32 v27, v34, v27
	v_fma_f16 v34, v104, 0x2de8, -v186
	v_add_f16_e64 v44, v189, v44
	v_fmac_f16_e64 v188, 0x3bb2, v103
	v_add_f16_e64 v181, v184, v181
	v_fma_f16 v184, 0xbb29, v105, v193
	v_add_f16_e64 v191, v194, v191
	v_fma_f16 v194, 0xb8d2, v96, v195
	v_mul_f16_e64 v197, 0xb1e1, v113
	v_add_f16_e32 v27, v34, v27
	v_fma_f16 v34, v106, 0xbacd, -v190
	v_add_f16_e64 v44, v188, v44
	v_fmac_f16_e64 v193, 0x3b29, v105
	v_fma_f16 v45, v86, 0x39e9, -v176
	v_fmac_f16_e32 v112, 0xb5c8, v87
	v_fma_f16 v47, v86, 0x3b76, -v108
	v_add_f16_e64 v181, v184, v181
	v_add_f16_e64 v184, v194, v191
	v_fma_f16 v191, 0xbbdd, v98, v197
	v_mul_f16_e64 v194, 0x3836, v116
	v_add_f16_e32 v27, v34, v27
	v_add_f16_e64 v34, v193, v44
	v_add_f16_e32 v44, v74, v45
	v_fma_f16 v45, v88, 0x2de8, -v192
	v_add_f16_e32 v46, v75, v112
	v_fmac_f16_e32 v115, 0xb964, v94
	v_add_f16_e32 v47, v74, v47
	v_fma_f16 v35, v88, 0x39e9, -v35
	v_add_f16_e64 v184, v191, v184
	v_fma_f16 v191, 0xbacd, v100, v194
	v_mul_f16_e64 v199, 0x3bb2, v119
	v_add_f16_e32 v44, v45, v44
	v_fma_f16 v45, v96, 0xb8d2, -v195
	v_fmac_f16_e64 v167, 0x31e1, v97
	v_add_f16_e32 v46, v115, v46
	v_fmac_f16_e32 v118, 0xbb29, v97
	v_add_f16_e32 v35, v35, v47
	v_fma_f16 v47, v96, 0x3722, -v81
	v_fma_f16 v196, 0xbacd, v106, v190
	v_add_f16_e64 v184, v191, v184
	v_fma_f16 v191, 0xb461, v102, v199
	v_mul_f16_e64 v201, 0x3b29, v122
	v_add_f16_e32 v44, v45, v44
	v_fma_f16 v45, v98, 0xbbdd, -v197
	v_add_f16_e64 v33, v167, v33
	v_fmac_f16_e64 v169, 0x3bb2, v99
	v_add_f16_e32 v46, v118, v46
	v_fmac_f16_e32 v121, 0xbbf7, v99
	v_add_f16_e32 v35, v47, v35
	v_fma_f16 v47, v98, 0x2de8, -v80
	v_add_f16_e64 v173, v196, v173
	v_mul_f16_e64 v196, 0x3b76, v129
	v_add_f16_e64 v184, v191, v184
	v_fma_f16 v191, 0x3722, v104, v201
	v_add_f16_e32 v44, v45, v44
	v_fma_f16 v45, v100, 0xbacd, -v194
	v_add_f16_e64 v33, v169, v33
	v_fmac_f16_e64 v171, 0x3964, v101
	v_add_f16_e32 v46, v121, v46
	v_fmac_f16_e32 v126, 0xbbb2, v101
	v_add_f16_e32 v35, v47, v35
	v_fma_f16 v47, v100, 0xb461, -v78
	v_fma_f16 v202, 0xb5c8, v107, v196
	v_add_f16_e64 v184, v191, v184
	v_mul_f16_e64 v191, 0x35c8, v125
	v_fmac_f16_e64 v138, 0x3bf7, v103
	v_add_f16_e32 v44, v45, v44
	v_fma_f16 v45, v102, 0xb461, -v199
	v_add_f16_e64 v33, v171, v33
	v_fmac_f16_e64 v170, 0xb5c8, v103
	v_add_f16_e32 v46, v126, v46
	v_fmac_f16_e32 v123, 0xba62, v103
	v_add_f16_e32 v35, v47, v35
	v_fma_f16 v31, v102, 0xb8d2, -v31
	v_add_f16_e64 v181, v202, v181
	v_fma_f16 v202, 0x3b76, v106, v191
	v_add_f16_e64 v22, v138, v22
	v_fmac_f16_e64 v140, 0xb5c8, v105
	v_add_f16_e32 v44, v45, v44
	v_fma_f16 v45, v104, 0x3722, -v201
	v_add_f16_e64 v33, v170, v33
	v_fmac_f16_e64 v175, 0xbbf7, v105
	v_add_f16_e32 v46, v123, v46
	v_fmac_f16_e32 v83, 0xb836, v105
	v_add_f16_e32 v31, v31, v35
	v_fma_f16 v29, v104, 0xbacd, -v29
	v_and_b32_e32 v35, 0xffff, v42
	v_add_f16_e64 v85, v202, v184
	v_add_f16_e64 v22, v140, v22
	v_fmac_f16_e64 v145, 0xba62, v107
	v_add_f16_e32 v44, v45, v44
	v_fma_f16 v45, v106, 0x3b76, -v191
	v_add_f16_e64 v33, v175, v33
	v_fmac_f16_e64 v180, 0xb836, v107
	v_fmac_f16_e64 v196, 0x35c8, v107
	v_add_f16_e32 v46, v83, v46
	v_fmac_f16_e32 v32, 0xb1e1, v107
	v_add_f16_e32 v29, v29, v31
	v_fma_f16 v30, v106, 0xbbdd, -v30
	v_lshl_add_u32 v31, v35, 2, v41
	v_pack_b32_f16 v20, v20, v23
	v_pack_b32_f16 v18, v18, v21
	;; [unrolled: 1-line block ×4, first 2 shown]
	v_add_f16_e64 v22, v145, v22
	v_add_f16_e32 v42, v45, v44
	v_pack_b32_f16 v35, v128, v124
	v_pack_b32_f16 v44, v131, v130
	v_add_f16_e64 v33, v180, v33
	v_add_f16_e64 v34, v196, v34
	v_add_f16_e32 v32, v32, v46
	v_pack_b32_f16 v45, v114, v111
	v_pack_b32_f16 v46, v120, v117
	v_add_f16_e32 v29, v30, v29
	ds_store_2addr_b32 v31, v18, v20 offset1:1
	ds_store_2addr_b32 v31, v23, v21 offset0:2 offset1:3
	ds_store_2addr_b32 v31, v44, v35 offset0:4 offset1:5
	;; [unrolled: 1-line block ×3, first 2 shown]
	v_perm_b32 v18, v95, v36, 0x5040100
	v_perm_b32 v20, v91, v90, 0x5040100
	;; [unrolled: 1-line block ×4, first 2 shown]
	v_pack_b32_f16 v26, v28, v26
	v_pack_b32_f16 v19, v19, v22
	;; [unrolled: 1-line block ×5, first 2 shown]
	ds_store_2addr_b32 v31, v20, v18 offset0:8 offset1:9
	ds_store_2addr_b32 v31, v23, v21 offset0:10 offset1:11
	;; [unrolled: 1-line block ×4, first 2 shown]
	ds_store_b32 v31, v28 offset:64
.LBB0_17:
	s_wait_alu 0xfffe
	s_or_b32 exec_lo, exec_lo, s1
	v_add_nc_u32_e32 v28, 0x400, v48
	v_add_nc_u32_e32 v20, 0x800, v48
	global_wb scope:SCOPE_SE
	s_wait_dscnt 0x0
	s_barrier_signal -1
	s_barrier_wait -1
	global_inv scope:SCOPE_SE
	ds_load_2addr_b32 v[18:19], v48 offset1:68
	ds_load_2addr_b32 v[26:27], v48 offset0:187 offset1:255
	ds_load_2addr_b32 v[22:23], v28 offset0:118 offset1:186
	ds_load_2addr_b32 v[20:21], v20 offset0:49 offset1:117
	s_and_saveexec_b32 s1, s0
	s_cbranch_execz .LBB0_19
; %bb.18:
	ds_load_b32 v90, v48 offset:544
	ds_load_2addr_b32 v[36:37], v28 offset0:67 offset1:254
	ds_load_b32 v89, v48 offset:2788
	s_wait_dscnt 0x2
	v_lshrrev_b32_e32 v91, 16, v90
	s_wait_dscnt 0x1
	v_lshrrev_b32_e32 v95, 16, v36
	v_lshrrev_b32_e32 v93, 16, v37
	s_wait_dscnt 0x0
	v_lshrrev_b32_e32 v92, 16, v89
.LBB0_19:
	s_wait_alu 0xfffe
	s_or_b32 exec_lo, exec_lo, s1
	s_wait_dscnt 0x1
	v_lshrrev_b32_e32 v30, 16, v22
	v_lshrrev_b32_e32 v29, 16, v26
	s_wait_dscnt 0x0
	v_lshrrev_b32_e32 v31, 16, v20
	v_lshrrev_b32_e32 v33, 16, v27
	;; [unrolled: 1-line block ×3, first 2 shown]
	v_mul_f16_e32 v44, v61, v30
	v_mul_f16_e32 v35, v62, v29
	;; [unrolled: 1-line block ×4, first 2 shown]
	v_lshrrev_b32_e32 v45, 16, v21
	v_fmac_f16_e32 v44, v15, v22
	v_mul_f16_e32 v22, v59, v31
	v_fmac_f16_e32 v35, v14, v26
	v_fma_f16 v14, v14, v29, -v42
	v_fma_f16 v15, v15, v30, -v46
	v_mul_f16_e32 v26, v59, v20
	v_mul_f16_e32 v29, v60, v33
	;; [unrolled: 1-line block ×3, first 2 shown]
	v_fmac_f16_e32 v22, v16, v20
	v_mul_f16_e32 v20, v58, v34
	v_fma_f16 v16, v16, v31, -v26
	v_fmac_f16_e32 v29, v11, v27
	v_fma_f16 v11, v11, v33, -v30
	v_mul_f16_e32 v30, v57, v45
	v_fmac_f16_e32 v20, v12, v23
	v_mul_f16_e32 v23, v58, v23
	v_mul_f16_e32 v31, v57, v21
	v_lshrrev_b32_e32 v28, 16, v18
	v_lshrrev_b32_e32 v32, 16, v19
	v_fmac_f16_e32 v30, v13, v21
	v_fma_f16 v12, v12, v34, -v23
	v_fma_f16 v13, v13, v45, -v31
	v_sub_f16_e32 v26, v18, v44
	v_sub_f16_e32 v22, v35, v22
	;; [unrolled: 1-line block ×8, first 2 shown]
	v_fma_f16 v18, v18, 2.0, -v26
	v_fma_f16 v27, v35, 2.0, -v22
	;; [unrolled: 1-line block ×8, first 2 shown]
	v_sub_f16_e32 v27, v18, v27
	v_sub_f16_e32 v14, v28, v14
	v_add_f16_e32 v16, v26, v16
	v_sub_f16_e32 v22, v15, v22
	v_sub_f16_e32 v29, v19, v29
	;; [unrolled: 1-line block ×3, first 2 shown]
	v_add_f16_e32 v13, v20, v13
	v_sub_f16_e32 v21, v12, v21
	v_fma_f16 v18, v18, 2.0, -v27
	v_fma_f16 v28, v28, 2.0, -v14
	;; [unrolled: 1-line block ×8, first 2 shown]
	v_pack_b32_f16 v18, v18, v28
	v_pack_b32_f16 v15, v26, v15
	v_pack_b32_f16 v14, v27, v14
	v_pack_b32_f16 v16, v16, v22
	v_pack_b32_f16 v19, v19, v23
	v_pack_b32_f16 v12, v20, v12
	v_pack_b32_f16 v11, v29, v11
	v_pack_b32_f16 v13, v13, v21
	global_wb scope:SCOPE_SE
	s_barrier_signal -1
	s_barrier_wait -1
	global_inv scope:SCOPE_SE
	ds_store_2addr_b32 v56, v18, v15 offset1:17
	ds_store_2addr_b32 v56, v14, v16 offset0:34 offset1:51
	ds_store_2addr_b32 v54, v19, v12 offset1:17
	ds_store_2addr_b32 v54, v11, v13 offset0:34 offset1:51
	s_and_saveexec_b32 s1, s0
	s_cbranch_execz .LBB0_21
; %bb.20:
	v_mul_f16_e32 v11, v55, v93
	v_mul_f16_e32 v12, v53, v36
	;; [unrolled: 1-line block ×6, first 2 shown]
	v_fmac_f16_e32 v11, v9, v37
	v_fma_f16 v12, v8, v95, -v12
	v_fmac_f16_e32 v14, v8, v36
	v_fmac_f16_e32 v15, v10, v89
	v_fma_f16 v8, v9, v93, -v13
	v_fma_f16 v9, v10, v92, -v16
	v_sub_f16_e32 v10, v90, v11
	v_mul_u32_u24_e32 v16, 0x44, v51
	v_sub_f16_e32 v11, v14, v15
	v_sub_f16_e32 v8, v91, v8
	;; [unrolled: 1-line block ×3, first 2 shown]
	v_fma_f16 v13, v90, 2.0, -v10
	v_add_nc_u32_e32 v16, v16, v50
	v_fma_f16 v14, v14, 2.0, -v11
	v_fma_f16 v15, v91, 2.0, -v8
	;; [unrolled: 1-line block ×3, first 2 shown]
	v_add_f16_e32 v9, v10, v9
	v_sub_f16_e32 v11, v8, v11
	v_sub_f16_e32 v14, v13, v14
	v_lshl_add_u32 v16, v16, 2, v41
	v_sub_f16_e32 v12, v15, v12
	v_fma_f16 v10, v10, 2.0, -v9
	v_fma_f16 v8, v8, 2.0, -v11
	;; [unrolled: 1-line block ×3, first 2 shown]
	v_pack_b32_f16 v9, v9, v11
	v_fma_f16 v15, v15, 2.0, -v12
	s_delay_alu instid0(VALU_DEP_4) | instskip(SKIP_1) | instid1(VALU_DEP_3)
	v_pack_b32_f16 v8, v10, v8
	v_pack_b32_f16 v10, v14, v12
	;; [unrolled: 1-line block ×3, first 2 shown]
	ds_store_2addr_b32 v16, v13, v8 offset1:17
	ds_store_2addr_b32 v16, v10, v9 offset0:34 offset1:51
.LBB0_21:
	s_wait_alu 0xfffe
	s_or_b32 exec_lo, exec_lo, s1
	global_wb scope:SCOPE_SE
	s_wait_dscnt 0x0
	s_barrier_signal -1
	s_barrier_wait -1
	global_inv scope:SCOPE_SE
	ds_load_2addr_b32 v[8:9], v48 offset1:68
	ds_load_2addr_b32 v[10:11], v48 offset0:136 offset1:204
	v_add_nc_u32_e32 v14, 0x400, v48
	v_add_nc_u32_e32 v18, 0x800, v48
	ds_load_b32 v16, v48 offset:2720
	ds_load_2addr_b32 v[12:13], v14 offset0:16 offset1:84
	ds_load_2addr_b32 v[14:15], v14 offset0:152 offset1:220
	;; [unrolled: 1-line block ×3, first 2 shown]
	s_wait_dscnt 0x5
	v_lshrrev_b32_e32 v21, 16, v9
	s_wait_dscnt 0x4
	v_lshrrev_b32_e32 v22, 16, v10
	v_lshrrev_b32_e32 v23, 16, v11
	v_mul_f16_e32 v27, v71, v9
	v_mul_f16_e32 v28, v72, v10
	s_wait_dscnt 0x2
	v_lshrrev_b32_e32 v29, 16, v12
	v_mul_f16_e32 v34, v71, v21
	v_mul_f16_e32 v35, v72, v22
	v_lshrrev_b32_e32 v30, 16, v13
	v_fma_f16 v21, v4, v21, -v27
	v_mul_f16_e32 v27, v70, v23
	v_fmac_f16_e32 v34, v4, v9
	v_fmac_f16_e32 v35, v5, v10
	v_mul_f16_e32 v4, v70, v11
	v_mul_f16_e32 v9, v69, v29
	;; [unrolled: 1-line block ×3, first 2 shown]
	v_lshrrev_b32_e32 v20, 16, v8
	v_fmac_f16_e32 v27, v6, v11
	v_fma_f16 v4, v6, v23, -v4
	v_fmac_f16_e32 v9, v7, v12
	v_mul_f16_e32 v6, v68, v30
	v_fma_f16 v7, v7, v29, -v10
	v_add_f16_e32 v10, v8, v34
	s_wait_dscnt 0x1
	v_lshrrev_b32_e32 v31, 16, v14
	v_fma_f16 v5, v5, v22, -v28
	v_mul_f16_e32 v11, v68, v13
	v_fmac_f16_e32 v6, v0, v13
	v_add_f16_e32 v13, v20, v21
	v_add_f16_e32 v10, v10, v35
	v_lshrrev_b32_e32 v32, 16, v15
	v_mul_f16_e32 v12, v67, v31
	v_fma_f16 v0, v0, v30, -v11
	v_mul_f16_e32 v11, v67, v14
	v_add_f16_e32 v13, v13, v5
	v_add_f16_e32 v10, v10, v27
	s_wait_dscnt 0x0
	v_lshrrev_b32_e32 v33, 16, v18
	v_fmac_f16_e32 v12, v1, v14
	v_mul_f16_e32 v14, v66, v32
	v_fma_f16 v1, v1, v31, -v11
	v_add_f16_e32 v11, v13, v4
	v_add_f16_e32 v10, v10, v9
	v_lshrrev_b32_e32 v36, 16, v19
	v_mul_f16_e32 v22, v66, v15
	v_fmac_f16_e32 v14, v2, v15
	v_mul_f16_e32 v13, v65, v33
	v_add_f16_e32 v11, v11, v7
	v_add_f16_e32 v10, v10, v6
	v_mul_f16_e32 v15, v65, v18
	v_lshrrev_b32_e32 v26, 16, v16
	v_fma_f16 v2, v2, v32, -v22
	v_mul_f16_e32 v22, v63, v36
	v_fmac_f16_e32 v13, v3, v18
	v_add_f16_e32 v11, v11, v0
	v_add_f16_e32 v10, v10, v12
	v_fma_f16 v3, v3, v33, -v15
	v_mul_f16_e32 v15, v64, v16
	v_fmac_f16_e32 v22, v24, v19
	v_add_f16_e32 v11, v11, v1
	v_add_f16_e32 v10, v10, v14
	v_mul_f16_e32 v18, v63, v19
	v_mul_f16_e32 v19, v64, v26
	v_fma_f16 v15, v25, v26, -v15
	v_add_f16_e32 v11, v11, v2
	v_add_f16_e32 v10, v10, v13
	v_fma_f16 v18, v24, v36, -v18
	v_fmac_f16_e32 v19, v25, v16
	v_sub_f16_e32 v16, v21, v15
	v_add_f16_e32 v11, v11, v3
	v_add_f16_e32 v10, v10, v22
	;; [unrolled: 1-line block ×4, first 2 shown]
	v_mul_f16_e32 v24, 0xb853, v16
	v_sub_f16_e32 v46, v5, v18
	v_add_f16_e32 v11, v11, v18
	v_sub_f16_e32 v25, v34, v19
	v_mul_f16_e32 v26, 0x3abb, v21
	v_fmamk_f16 v28, v23, 0x3abb, v24
	v_add_f16_e32 v10, v10, v19
	v_mul_f16_e32 v19, 0xbb47, v16
	v_mul_f16_e32 v30, 0x36a6, v21
	;; [unrolled: 1-line block ×8, first 2 shown]
	v_add_f16_e32 v48, v35, v22
	v_mul_f16_e32 v49, 0xbb47, v46
	v_add_f16_e32 v5, v5, v18
	v_add_f16_e32 v11, v11, v15
	v_fmamk_f16 v15, v25, 0x3853, v26
	v_add_f16_e32 v28, v8, v28
	v_fma_f16 v24, v23, 0x3abb, -v24
	v_fmac_f16_e32 v26, 0xb853, v25
	v_fmamk_f16 v29, v23, 0x36a6, v19
	v_fmamk_f16 v32, v25, 0x3b47, v30
	v_fma_f16 v19, v23, 0x36a6, -v19
	v_fmac_f16_e32 v30, 0xbb47, v25
	v_fmamk_f16 v33, v23, 0xb08e, v31
	v_fmamk_f16 v36, v25, 0x3beb, v34
	;; [unrolled: 4-line block ×4, first 2 shown]
	v_fma_f16 v16, v23, 0xbbad, -v16
	v_fmac_f16_e32 v21, 0xb482, v25
	v_sub_f16_e32 v18, v35, v22
	v_fmamk_f16 v22, v48, 0x36a6, v49
	v_mul_f16_e32 v23, 0x36a6, v5
	v_add_f16_e32 v15, v20, v15
	v_add_f16_e32 v24, v8, v24
	v_add_f16_e32 v26, v20, v26
	v_add_f16_e32 v29, v8, v29
	v_add_f16_e32 v32, v20, v32
	v_add_f16_e32 v19, v8, v19
	v_add_f16_e32 v30, v20, v30
	v_add_f16_e32 v33, v8, v33
	v_add_f16_e32 v36, v20, v36
	v_add_f16_e32 v31, v8, v31
	v_add_f16_e32 v34, v20, v34
	v_add_f16_e32 v42, v8, v42
	v_add_f16_e32 v44, v20, v44
	v_add_f16_e32 v37, v8, v37
	v_add_f16_e32 v41, v20, v41
	v_add_f16_e32 v45, v8, v45
	v_add_f16_e32 v25, v20, v47
	v_add_f16_e32 v8, v8, v16
	v_add_f16_e32 v16, v20, v21
	v_add_f16_e32 v20, v22, v28
	v_fmamk_f16 v21, v18, 0x3b47, v23
	v_mul_f16_e32 v22, 0xba0c, v46
	v_fma_f16 v28, v48, 0x36a6, -v49
	v_fmac_f16_e32 v23, 0xbb47, v18
	v_mul_f16_e32 v35, 0xb93d, v5
	v_add_f16_e32 v15, v21, v15
	v_fmamk_f16 v21, v48, 0xb93d, v22
	v_add_f16_e32 v24, v28, v24
	v_add_f16_e32 v23, v23, v26
	v_fmamk_f16 v26, v18, 0x3a0c, v35
	v_mul_f16_e32 v28, 0x3482, v46
	v_add_f16_e32 v21, v21, v29
	v_fma_f16 v22, v48, 0xb93d, -v22
	v_fmac_f16_e32 v35, 0xba0c, v18
	v_add_f16_e32 v26, v26, v32
	v_fmamk_f16 v29, v48, 0xbbad, v28
	v_mul_f16_e32 v32, 0xbbad, v5
	v_add_f16_e32 v19, v22, v19
	v_add_f16_e32 v22, v35, v30
	v_mul_f16_e32 v30, 0x3beb, v46
	v_add_f16_e32 v29, v29, v33
	v_fmamk_f16 v33, v18, 0xb482, v32
	v_fma_f16 v28, v48, 0xbbad, -v28
	v_fmac_f16_e32 v32, 0x3482, v18
	v_mul_f16_e32 v47, 0xb08e, v5
	v_fmamk_f16 v35, v48, 0xb08e, v30
	v_mul_f16_e32 v5, 0x3abb, v5
	v_add_f16_e32 v28, v28, v31
	v_add_f16_e32 v31, v32, v34
	v_fmamk_f16 v34, v18, 0xbbeb, v47
	v_fma_f16 v30, v48, 0xb08e, -v30
	v_fmac_f16_e32 v47, 0x3beb, v18
	v_add_f16_e32 v32, v35, v42
	v_mul_f16_e32 v35, 0x3853, v46
	v_fmamk_f16 v42, v18, 0xb853, v5
	v_add_f16_e32 v30, v30, v37
	v_add_f16_e32 v37, v47, v41
	v_sub_f16_e32 v41, v4, v3
	v_add_f16_e32 v3, v4, v3
	v_add_f16_e32 v33, v33, v36
	v_fmamk_f16 v36, v48, 0x3abb, v35
	v_add_f16_e32 v25, v42, v25
	v_add_f16_e32 v42, v27, v13
	v_mul_f16_e32 v4, 0xbbeb, v41
	v_fma_f16 v35, v48, 0x3abb, -v35
	v_fmac_f16_e32 v5, 0x3853, v18
	v_sub_f16_e32 v13, v27, v13
	v_mul_f16_e32 v18, 0xb08e, v3
	v_fmamk_f16 v27, v42, 0xb08e, v4
	v_add_f16_e32 v8, v35, v8
	v_add_f16_e32 v5, v5, v16
	v_mul_f16_e32 v16, 0x3482, v41
	v_fmamk_f16 v35, v13, 0x3beb, v18
	v_add_f16_e32 v20, v27, v20
	v_fma_f16 v4, v42, 0xb08e, -v4
	v_fmac_f16_e32 v18, 0xbbeb, v13
	v_fmamk_f16 v27, v42, 0xbbad, v16
	v_add_f16_e32 v15, v35, v15
	v_mul_f16_e32 v35, 0xbbad, v3
	v_add_f16_e32 v4, v4, v24
	v_add_f16_e32 v18, v18, v23
	;; [unrolled: 1-line block ×3, first 2 shown]
	v_mul_f16_e32 v23, 0x3b47, v41
	v_fmamk_f16 v24, v13, 0xb482, v35
	v_fma_f16 v16, v42, 0xbbad, -v16
	v_fmac_f16_e32 v35, 0x3482, v13
	v_mul_f16_e32 v27, 0x36a6, v3
	v_add_f16_e32 v34, v34, v44
	v_fmamk_f16 v44, v42, 0x36a6, v23
	v_add_f16_e32 v16, v16, v19
	v_add_f16_e32 v19, v35, v22
	v_fmamk_f16 v22, v13, 0xbb47, v27
	v_add_f16_e32 v24, v24, v26
	v_add_f16_e32 v26, v44, v29
	v_mul_f16_e32 v29, 0xb853, v41
	v_fma_f16 v23, v42, 0x36a6, -v23
	v_fmac_f16_e32 v27, 0x3b47, v13
	v_add_f16_e32 v22, v22, v33
	v_mul_f16_e32 v33, 0x3abb, v3
	v_fmamk_f16 v35, v42, 0x3abb, v29
	v_add_f16_e32 v23, v23, v28
	v_add_f16_e32 v27, v27, v31
	v_mul_f16_e32 v28, 0xba0c, v41
	v_fmamk_f16 v31, v13, 0x3853, v33
	v_add_f16_e32 v36, v36, v45
	v_add_f16_e32 v32, v35, v32
	v_fma_f16 v29, v42, 0x3abb, -v29
	v_fmac_f16_e32 v33, 0xb853, v13
	v_fmamk_f16 v35, v42, 0xb93d, v28
	v_add_f16_e32 v31, v31, v34
	v_mul_f16_e32 v3, 0xb93d, v3
	v_sub_f16_e32 v34, v7, v2
	v_add_f16_e32 v2, v7, v2
	v_add_f16_e32 v29, v29, v30
	;; [unrolled: 1-line block ×4, first 2 shown]
	v_fmamk_f16 v35, v13, 0x3a0c, v3
	v_fma_f16 v28, v42, 0xb93d, -v28
	v_add_f16_e32 v7, v9, v14
	v_mul_f16_e32 v36, 0xba0c, v34
	v_fmac_f16_e32 v3, 0xba0c, v13
	v_sub_f16_e32 v9, v9, v14
	v_mul_f16_e32 v13, 0xb93d, v2
	v_add_f16_e32 v14, v35, v25
	v_fmamk_f16 v25, v7, 0xb93d, v36
	v_add_f16_e32 v8, v28, v8
	v_add_f16_e32 v3, v3, v5
	v_fmamk_f16 v5, v9, 0x3a0c, v13
	v_mul_f16_e32 v28, 0x3beb, v34
	v_fmac_f16_e32 v13, 0xba0c, v9
	v_add_f16_e32 v20, v25, v20
	v_fma_f16 v25, v7, 0xb93d, -v36
	v_add_f16_e32 v5, v5, v15
	v_fmamk_f16 v15, v7, 0xb08e, v28
	v_mul_f16_e32 v35, 0xb08e, v2
	v_add_f16_e32 v13, v13, v18
	v_mul_f16_e32 v18, 0xb853, v34
	v_add_f16_e32 v4, v25, v4
	v_add_f16_e32 v15, v15, v21
	v_fmamk_f16 v21, v9, 0xbbeb, v35
	v_fma_f16 v25, v7, 0xb08e, -v28
	v_fmamk_f16 v28, v7, 0x3abb, v18
	v_mul_f16_e32 v36, 0x3abb, v2
	v_fma_f16 v18, v7, 0x3abb, -v18
	v_add_f16_e32 v21, v21, v24
	v_add_f16_e32 v16, v25, v16
	;; [unrolled: 1-line block ×3, first 2 shown]
	v_fmamk_f16 v25, v9, 0x3853, v36
	v_mul_f16_e32 v26, 0xb482, v34
	v_mul_f16_e32 v28, 0xbbad, v2
	v_add_f16_e32 v18, v18, v23
	v_mul_f16_e32 v34, 0x3b47, v34
	v_add_f16_e32 v22, v25, v22
	v_fmamk_f16 v25, v7, 0xbbad, v26
	v_fmamk_f16 v23, v9, 0x3482, v28
	v_fma_f16 v26, v7, 0xbbad, -v26
	v_fmac_f16_e32 v28, 0xb482, v9
	v_mul_f16_e32 v2, 0x36a6, v2
	v_add_f16_e32 v25, v25, v32
	v_add_f16_e32 v23, v23, v31
	v_fmamk_f16 v31, v7, 0x36a6, v34
	v_add_f16_e32 v26, v26, v29
	v_sub_f16_e32 v29, v0, v1
	v_add_f16_e32 v28, v28, v30
	v_add_f16_e32 v32, v6, v12
	;; [unrolled: 1-line block ×4, first 2 shown]
	v_mul_f16_e32 v33, 0xb482, v29
	v_fmac_f16_e32 v35, 0x3beb, v9
	v_fmac_f16_e32 v36, 0xb853, v9
	v_fmamk_f16 v31, v9, 0xbb47, v2
	v_fma_f16 v1, v7, 0x36a6, -v34
	v_fmac_f16_e32 v2, 0x3b47, v9
	v_sub_f16_e32 v6, v6, v12
	v_fmamk_f16 v7, v32, 0xbbad, v33
	v_mul_f16_e32 v9, 0xbbad, v0
	v_add_f16_e32 v12, v31, v14
	v_add_f16_e32 v1, v1, v8
	v_add_f16_e32 v2, v2, v3
	v_add_f16_e32 v3, v7, v20
	v_fmamk_f16 v7, v6, 0x3482, v9
	v_mul_f16_e32 v8, 0x3853, v29
	v_fma_f16 v14, v32, 0xbbad, -v33
	v_fmac_f16_e32 v9, 0xb482, v6
	v_mul_f16_e32 v20, 0x3abb, v0
	v_add_f16_e32 v19, v35, v19
	v_add_f16_e32 v5, v7, v5
	v_fmamk_f16 v7, v32, 0x3abb, v8
	v_add_f16_e32 v14, v14, v4
	v_add_f16_e32 v9, v9, v13
	v_fmamk_f16 v4, v6, 0xb853, v20
	v_mul_f16_e32 v13, 0xba0c, v29
	v_fma_f16 v8, v32, 0x3abb, -v8
	v_fmac_f16_e32 v20, 0x3853, v6
	v_add_f16_e32 v7, v7, v15
	v_add_f16_e32 v4, v4, v21
	v_fmamk_f16 v15, v32, 0xb93d, v13
	v_mul_f16_e32 v21, 0xb93d, v0
	v_add_f16_e32 v8, v8, v16
	v_add_f16_e32 v16, v20, v19
	v_mul_f16_e32 v19, 0x3b47, v29
	v_add_f16_e32 v27, v36, v27
	v_add_f16_e32 v15, v15, v24
	v_fmamk_f16 v20, v6, 0x3a0c, v21
	v_fma_f16 v13, v32, 0xb93d, -v13
	v_fmac_f16_e32 v21, 0xba0c, v6
	v_fmamk_f16 v24, v32, 0x36a6, v19
	v_mul_f16_e32 v31, 0x36a6, v0
	v_fma_f16 v19, v32, 0x36a6, -v19
	v_add_f16_e32 v13, v13, v18
	v_add_f16_e32 v18, v21, v27
	;; [unrolled: 1-line block ×3, first 2 shown]
	v_mul_f16_e32 v24, 0xbbeb, v29
	v_mul_f16_e32 v0, 0xb08e, v0
	v_add_f16_e32 v20, v20, v22
	v_fmamk_f16 v22, v6, 0xbb47, v31
	v_add_f16_e32 v19, v19, v26
	v_fmamk_f16 v25, v32, 0xb08e, v24
	v_fmamk_f16 v26, v6, 0x3beb, v0
	v_fma_f16 v24, v32, 0xb08e, -v24
	v_fmac_f16_e32 v0, 0xbbeb, v6
	v_fmac_f16_e32 v31, 0x3b47, v6
	v_pack_b32_f16 v6, v10, v11
	v_add_f16_e32 v22, v22, v23
	v_add_f16_e32 v10, v25, v30
	;; [unrolled: 1-line block ×6, first 2 shown]
	ds_store_b32 v43, v6
	v_pack_b32_f16 v6, v3, v5
	v_pack_b32_f16 v7, v7, v4
	v_add_nc_u32_e32 v5, 0x200, v43
	v_add_nc_u32_e32 v4, 0x400, v43
	;; [unrolled: 1-line block ×4, first 2 shown]
	v_pack_b32_f16 v12, v15, v20
	v_pack_b32_f16 v15, v21, v22
	;; [unrolled: 1-line block ×8, first 2 shown]
	ds_store_2addr_b32 v43, v6, v7 offset0:68 offset1:136
	ds_store_2addr_b32 v5, v12, v15 offset0:76 offset1:144
	;; [unrolled: 1-line block ×5, first 2 shown]
	global_wb scope:SCOPE_SE
	s_wait_dscnt 0x0
	s_barrier_signal -1
	s_barrier_wait -1
	global_inv scope:SCOPE_SE
	s_and_b32 exec_lo, exec_lo, vcc_lo
	s_cbranch_execz .LBB0_23
; %bb.22:
	global_load_b32 v0, v39, s[12:13]
	ds_load_b32 v1, v43
	s_mov_b32 s8, 0xb8d015e7
	s_mov_b32 s9, 0x3f55e75b
	v_mad_co_u64_u32 v[10:11], null, s4, v40, 0
	s_wait_dscnt 0x0
	v_lshrrev_b32_e32 v6, 16, v1
	s_wait_loadcnt 0x0
	v_lshrrev_b32_e32 v7, 16, v0
	s_delay_alu instid0(VALU_DEP_1) | instskip(SKIP_1) | instid1(VALU_DEP_2)
	v_mul_f16_e32 v8, v6, v7
	v_mul_f16_e32 v7, v1, v7
	v_fmac_f16_e32 v8, v1, v0
	s_delay_alu instid0(VALU_DEP_2) | instskip(NEXT) | instid1(VALU_DEP_2)
	v_fma_f16 v0, v0, v6, -v7
	v_cvt_f32_f16_e32 v1, v8
	s_delay_alu instid0(VALU_DEP_2) | instskip(SKIP_1) | instid1(VALU_DEP_3)
	v_cvt_f32_f16_e32 v6, v0
	v_mad_co_u64_u32 v[8:9], null, s6, v17, 0
	v_cvt_f64_f32_e32 v[0:1], v1
	s_delay_alu instid0(VALU_DEP_3) | instskip(SKIP_1) | instid1(VALU_DEP_2)
	v_cvt_f64_f32_e32 v[6:7], v6
	s_wait_alu 0xfffe
	v_mul_f64_e32 v[0:1], s[8:9], v[0:1]
	s_delay_alu instid0(VALU_DEP_2) | instskip(NEXT) | instid1(VALU_DEP_2)
	v_mul_f64_e32 v[6:7], s[8:9], v[6:7]
	v_and_or_b32 v0, 0x1ff, v1, v0
	s_delay_alu instid0(VALU_DEP_2)
	v_and_or_b32 v6, 0x1ff, v7, v6
	v_lshrrev_b32_e32 v12, 8, v1
	v_bfe_u32 v14, v1, 20, 11
	v_bfe_u32 v15, v7, 20, 11
	v_cmp_ne_u32_e32 vcc_lo, 0, v0
	v_lshrrev_b32_e32 v13, 8, v7
	v_mov_b32_e32 v0, v11
	v_sub_nc_u32_e32 v18, 0x3f1, v14
	v_sub_nc_u32_e32 v19, 0x3f1, v15
	v_cndmask_b32_e64 v16, 0, 1, vcc_lo
	v_cmp_ne_u32_e32 vcc_lo, 0, v6
	v_add_nc_u32_e32 v14, 0xfffffc10, v14
	v_lshrrev_b32_e32 v7, 16, v7
	s_delay_alu instid0(VALU_DEP_4)
	v_and_or_b32 v16, 0xffe, v12, v16
	s_wait_alu 0xfffd
	v_cndmask_b32_e64 v6, 0, 1, vcc_lo
	v_mad_co_u64_u32 v[11:12], null, s7, v17, v[9:10]
	v_med3_i32 v17, v18, 0, 13
	v_med3_i32 v18, v19, 0, 13
	s_delay_alu instid0(VALU_DEP_4) | instskip(SKIP_3) | instid1(VALU_DEP_3)
	v_and_or_b32 v6, 0xffe, v13, v6
	v_or_b32_e32 v19, 0x1000, v16
	s_mul_u64 s[6:7], s[4:5], 0xb0
	v_mov_b32_e32 v9, v11
	v_or_b32_e32 v20, 0x1000, v6
	v_mad_co_u64_u32 v[12:13], null, s5, v40, v[0:1]
	v_lshrrev_b32_e32 v0, v17, v19
	v_lshrrev_b32_e32 v1, 16, v1
	s_delay_alu instid0(VALU_DEP_4) | instskip(SKIP_1) | instid1(VALU_DEP_4)
	v_lshrrev_b32_e32 v13, v18, v20
	v_lshlrev_b64_e32 v[8:9], 2, v[8:9]
	v_lshlrev_b32_e32 v17, v17, v0
	s_delay_alu instid0(VALU_DEP_3) | instskip(SKIP_1) | instid1(VALU_DEP_3)
	v_dual_mov_b32 v11, v12 :: v_dual_lshlrev_b32 v12, v18, v13
	v_lshl_or_b32 v18, v14, 12, v16
	v_cmp_ne_u32_e32 vcc_lo, v17, v19
	s_delay_alu instid0(VALU_DEP_3) | instskip(SKIP_3) | instid1(VALU_DEP_2)
	v_lshlrev_b64_e32 v[10:11], 2, v[10:11]
	s_wait_alu 0xfffd
	v_cndmask_b32_e64 v17, 0, 1, vcc_lo
	v_cmp_ne_u32_e32 vcc_lo, v12, v20
	v_or_b32_e32 v0, v0, v17
	s_wait_alu 0xfffd
	v_cndmask_b32_e64 v12, 0, 1, vcc_lo
	v_cmp_gt_i32_e32 vcc_lo, 1, v14
	v_add_nc_u32_e32 v15, 0xfffffc10, v15
	s_delay_alu instid0(VALU_DEP_3) | instskip(SKIP_2) | instid1(VALU_DEP_3)
	v_or_b32_e32 v12, v13, v12
	s_wait_alu 0xfffd
	v_cndmask_b32_e32 v0, v18, v0, vcc_lo
	v_lshl_or_b32 v17, v15, 12, v6
	v_cmp_gt_i32_e32 vcc_lo, 1, v15
	s_wait_alu 0xfffd
	s_delay_alu instid0(VALU_DEP_2)
	v_cndmask_b32_e32 v12, v17, v12, vcc_lo
	v_cmp_ne_u32_e32 vcc_lo, 0, v16
	v_and_b32_e32 v16, 7, v0
	v_lshrrev_b32_e32 v0, 2, v0
	s_wait_alu 0xfffd
	v_cndmask_b32_e64 v13, 0, 1, vcc_lo
	v_cmp_ne_u32_e32 vcc_lo, 0, v6
	v_cmp_eq_u32_e64 s0, 3, v16
	s_delay_alu instid0(VALU_DEP_3) | instskip(SKIP_3) | instid1(VALU_DEP_2)
	v_lshl_or_b32 v13, v13, 9, 0x7c00
	s_wait_alu 0xfffd
	v_cndmask_b32_e64 v6, 0, 1, vcc_lo
	v_cmp_lt_i32_e32 vcc_lo, 5, v16
	v_lshl_or_b32 v6, v6, 9, 0x7c00
	v_and_b32_e32 v17, 7, v12
	v_lshrrev_b32_e32 v12, 2, v12
	s_or_b32 vcc_lo, s0, vcc_lo
	s_wait_alu 0xfffe
	v_add_co_ci_u32_e32 v0, vcc_lo, 0, v0, vcc_lo
	v_cmp_lt_i32_e64 s1, 5, v17
	v_cmp_eq_u32_e64 s2, 3, v17
	s_delay_alu instid0(VALU_DEP_1)
	s_or_b32 vcc_lo, s2, s1
	s_wait_alu 0xfffe
	v_add_co_ci_u32_e32 v12, vcc_lo, 0, v12, vcc_lo
	v_cmp_gt_i32_e32 vcc_lo, 31, v14
	s_wait_alu 0xfffd
	v_cndmask_b32_e32 v0, 0x7c00, v0, vcc_lo
	v_cmp_gt_i32_e32 vcc_lo, 31, v15
	s_wait_alu 0xfffd
	v_cndmask_b32_e32 v12, 0x7c00, v12, vcc_lo
	v_cmp_eq_u32_e32 vcc_lo, 0x40f, v14
	s_wait_alu 0xfffd
	v_cndmask_b32_e32 v0, v0, v13, vcc_lo
	v_cmp_eq_u32_e32 vcc_lo, 0x40f, v15
	s_wait_alu 0xfffd
	v_cndmask_b32_e32 v6, v12, v6, vcc_lo
	s_delay_alu instid0(VALU_DEP_3)
	v_and_or_b32 v12, 0x8000, v1, v0
	v_add_co_u32 v0, vcc_lo, s14, v8
	s_wait_alu 0xfffd
	v_add_co_ci_u32_e32 v1, vcc_lo, s15, v9, vcc_lo
	v_and_or_b32 v8, 0x8000, v7, v6
	v_and_b32_e32 v9, 0xffff, v12
	v_add_co_u32 v6, vcc_lo, v0, v10
	s_wait_alu 0xfffd
	v_add_co_ci_u32_e32 v7, vcc_lo, v1, v11, vcc_lo
	s_delay_alu instid0(VALU_DEP_3)
	v_lshl_or_b32 v8, v8, 16, v9
	global_store_b32 v[6:7], v8, off
	global_load_b32 v10, v39, s[12:13] offset:176
	ds_load_2addr_b32 v[8:9], v43 offset0:44 offset1:88
	s_wait_dscnt 0x0
	v_lshrrev_b32_e32 v11, 16, v8
	s_wait_loadcnt 0x0
	v_lshrrev_b32_e32 v12, 16, v10
	s_delay_alu instid0(VALU_DEP_1) | instskip(SKIP_1) | instid1(VALU_DEP_2)
	v_mul_f16_e32 v13, v11, v12
	v_mul_f16_e32 v12, v8, v12
	v_fmac_f16_e32 v13, v8, v10
	s_delay_alu instid0(VALU_DEP_2) | instskip(NEXT) | instid1(VALU_DEP_2)
	v_fma_f16 v8, v10, v11, -v12
	v_cvt_f32_f16_e32 v10, v13
	s_delay_alu instid0(VALU_DEP_2) | instskip(NEXT) | instid1(VALU_DEP_2)
	v_cvt_f32_f16_e32 v8, v8
	v_cvt_f64_f32_e32 v[10:11], v10
	s_delay_alu instid0(VALU_DEP_2) | instskip(NEXT) | instid1(VALU_DEP_2)
	v_cvt_f64_f32_e32 v[12:13], v8
	v_mul_f64_e32 v[10:11], s[8:9], v[10:11]
	s_delay_alu instid0(VALU_DEP_2) | instskip(NEXT) | instid1(VALU_DEP_2)
	v_mul_f64_e32 v[12:13], s[8:9], v[12:13]
	v_and_or_b32 v8, 0x1ff, v11, v10
	s_delay_alu instid0(VALU_DEP_2)
	v_and_or_b32 v12, 0x1ff, v13, v12
	v_lshrrev_b32_e32 v10, 8, v11
	v_bfe_u32 v14, v11, 20, 11
	v_lshrrev_b32_e32 v15, 8, v13
	v_cmp_ne_u32_e32 vcc_lo, 0, v8
	v_bfe_u32 v16, v13, 20, 11
	v_lshrrev_b32_e32 v11, 16, v11
	v_sub_nc_u32_e32 v17, 0x3f1, v14
	v_add_nc_u32_e32 v14, 0xfffffc10, v14
	s_wait_alu 0xfffd
	v_cndmask_b32_e64 v8, 0, 1, vcc_lo
	v_cmp_ne_u32_e32 vcc_lo, 0, v12
	v_lshrrev_b32_e32 v13, 16, v13
	s_delay_alu instid0(VALU_DEP_3) | instskip(SKIP_4) | instid1(VALU_DEP_3)
	v_and_or_b32 v8, 0xffe, v10, v8
	s_wait_alu 0xfffd
	v_cndmask_b32_e64 v12, 0, 1, vcc_lo
	v_sub_nc_u32_e32 v10, 0x3f1, v16
	v_add_nc_u32_e32 v16, 0xfffffc10, v16
	v_and_or_b32 v12, 0xffe, v15, v12
	v_med3_i32 v15, v17, 0, 13
	v_or_b32_e32 v17, 0x1000, v8
	v_med3_i32 v10, v10, 0, 13
	s_delay_alu instid0(VALU_DEP_4) | instskip(NEXT) | instid1(VALU_DEP_3)
	v_or_b32_e32 v18, 0x1000, v12
	v_lshrrev_b32_e32 v19, v15, v17
	s_delay_alu instid0(VALU_DEP_2) | instskip(NEXT) | instid1(VALU_DEP_2)
	v_lshrrev_b32_e32 v20, v10, v18
	v_lshlrev_b32_e32 v15, v15, v19
	s_delay_alu instid0(VALU_DEP_2) | instskip(NEXT) | instid1(VALU_DEP_2)
	v_lshlrev_b32_e32 v10, v10, v20
	v_cmp_ne_u32_e32 vcc_lo, v15, v17
	v_lshl_or_b32 v17, v14, 12, v8
	s_wait_alu 0xfffd
	v_cndmask_b32_e64 v15, 0, 1, vcc_lo
	v_cmp_ne_u32_e32 vcc_lo, v10, v18
	v_lshl_or_b32 v18, v16, 12, v12
	s_delay_alu instid0(VALU_DEP_3) | instskip(SKIP_3) | instid1(VALU_DEP_2)
	v_or_b32_e32 v15, v19, v15
	s_wait_alu 0xfffd
	v_cndmask_b32_e64 v10, 0, 1, vcc_lo
	v_cmp_gt_i32_e32 vcc_lo, 1, v14
	v_or_b32_e32 v10, v20, v10
	s_wait_alu 0xfffd
	v_cndmask_b32_e32 v15, v17, v15, vcc_lo
	v_cmp_gt_i32_e32 vcc_lo, 1, v16
	s_wait_alu 0xfffd
	s_delay_alu instid0(VALU_DEP_2) | instskip(SKIP_2) | instid1(VALU_DEP_3)
	v_dual_cndmask_b32 v10, v18, v10 :: v_dual_and_b32 v17, 7, v15
	v_cmp_ne_u32_e32 vcc_lo, 0, v8
	v_lshrrev_b32_e32 v15, 2, v15
	v_cmp_eq_u32_e64 s0, 3, v17
	s_delay_alu instid0(VALU_DEP_4)
	v_and_b32_e32 v18, 7, v10
	s_wait_alu 0xfffd
	v_cndmask_b32_e64 v8, 0, 1, vcc_lo
	v_cmp_ne_u32_e32 vcc_lo, 0, v12
	v_lshrrev_b32_e32 v10, 2, v10
	v_cmp_lt_i32_e64 s1, 5, v18
	v_cmp_eq_u32_e64 s2, 3, v18
	s_wait_alu 0xfffd
	v_cndmask_b32_e64 v12, 0, 1, vcc_lo
	v_cmp_lt_i32_e32 vcc_lo, 5, v17
	v_lshl_or_b32 v8, v8, 9, 0x7c00
	s_delay_alu instid0(VALU_DEP_3)
	v_lshl_or_b32 v12, v12, 9, 0x7c00
	s_or_b32 vcc_lo, s0, vcc_lo
	s_wait_alu 0xfffe
	v_add_co_ci_u32_e32 v15, vcc_lo, 0, v15, vcc_lo
	s_or_b32 vcc_lo, s2, s1
	s_wait_alu 0xfffe
	v_add_co_ci_u32_e32 v10, vcc_lo, 0, v10, vcc_lo
	v_cmp_gt_i32_e32 vcc_lo, 31, v14
	s_wait_alu 0xfffd
	v_cndmask_b32_e32 v15, 0x7c00, v15, vcc_lo
	v_cmp_gt_i32_e32 vcc_lo, 31, v16
	s_wait_alu 0xfffd
	v_cndmask_b32_e32 v10, 0x7c00, v10, vcc_lo
	v_cmp_eq_u32_e32 vcc_lo, 0x40f, v14
	s_wait_alu 0xfffd
	v_cndmask_b32_e32 v8, v15, v8, vcc_lo
	v_cmp_eq_u32_e32 vcc_lo, 0x40f, v16
	s_delay_alu instid0(VALU_DEP_2)
	v_and_or_b32 v8, 0x8000, v11, v8
	s_wait_alu 0xfffd
	v_cndmask_b32_e32 v10, v10, v12, vcc_lo
	v_add_co_u32 v6, vcc_lo, v6, s6
	s_wait_alu 0xfffd
	v_add_co_ci_u32_e32 v7, vcc_lo, s7, v7, vcc_lo
	s_delay_alu instid0(VALU_DEP_3) | instskip(SKIP_1) | instid1(VALU_DEP_1)
	v_and_or_b32 v10, 0x8000, v13, v10
	v_and_b32_e32 v8, 0xffff, v8
	v_lshl_or_b32 v8, v10, 16, v8
	v_lshrrev_b32_e32 v10, 16, v9
	global_store_b32 v[6:7], v8, off
	global_load_b32 v8, v39, s[12:13] offset:352
	s_wait_loadcnt 0x0
	v_lshrrev_b32_e32 v11, 16, v8
	s_delay_alu instid0(VALU_DEP_1) | instskip(SKIP_1) | instid1(VALU_DEP_2)
	v_mul_f16_e32 v12, v10, v11
	v_mul_f16_e32 v11, v9, v11
	v_fmac_f16_e32 v12, v9, v8
	s_delay_alu instid0(VALU_DEP_2) | instskip(NEXT) | instid1(VALU_DEP_2)
	v_fma_f16 v8, v8, v10, -v11
	v_cvt_f32_f16_e32 v9, v12
	s_delay_alu instid0(VALU_DEP_2) | instskip(NEXT) | instid1(VALU_DEP_2)
	v_cvt_f32_f16_e32 v10, v8
	v_cvt_f64_f32_e32 v[8:9], v9
	s_delay_alu instid0(VALU_DEP_2) | instskip(NEXT) | instid1(VALU_DEP_2)
	v_cvt_f64_f32_e32 v[10:11], v10
	v_mul_f64_e32 v[8:9], s[8:9], v[8:9]
	s_delay_alu instid0(VALU_DEP_2) | instskip(NEXT) | instid1(VALU_DEP_2)
	v_mul_f64_e32 v[10:11], s[8:9], v[10:11]
	v_and_or_b32 v8, 0x1ff, v9, v8
	s_delay_alu instid0(VALU_DEP_2)
	v_and_or_b32 v10, 0x1ff, v11, v10
	v_lshrrev_b32_e32 v12, 8, v9
	v_bfe_u32 v13, v9, 20, 11
	v_lshrrev_b32_e32 v14, 8, v11
	v_cmp_ne_u32_e32 vcc_lo, 0, v8
	v_bfe_u32 v15, v11, 20, 11
	v_lshrrev_b32_e32 v9, 16, v9
	v_sub_nc_u32_e32 v16, 0x3f1, v13
	v_add_nc_u32_e32 v13, 0xfffffc10, v13
	s_wait_alu 0xfffd
	v_cndmask_b32_e64 v8, 0, 1, vcc_lo
	v_cmp_ne_u32_e32 vcc_lo, 0, v10
	v_lshrrev_b32_e32 v11, 16, v11
	s_delay_alu instid0(VALU_DEP_3) | instskip(SKIP_4) | instid1(VALU_DEP_3)
	v_and_or_b32 v8, 0xffe, v12, v8
	s_wait_alu 0xfffd
	v_cndmask_b32_e64 v10, 0, 1, vcc_lo
	v_sub_nc_u32_e32 v12, 0x3f1, v15
	v_add_nc_u32_e32 v15, 0xfffffc10, v15
	v_and_or_b32 v10, 0xffe, v14, v10
	v_med3_i32 v14, v16, 0, 13
	v_or_b32_e32 v16, 0x1000, v8
	v_med3_i32 v12, v12, 0, 13
	s_delay_alu instid0(VALU_DEP_4) | instskip(NEXT) | instid1(VALU_DEP_3)
	v_or_b32_e32 v17, 0x1000, v10
	v_lshrrev_b32_e32 v18, v14, v16
	s_delay_alu instid0(VALU_DEP_2) | instskip(NEXT) | instid1(VALU_DEP_2)
	v_lshrrev_b32_e32 v19, v12, v17
	v_lshlrev_b32_e32 v14, v14, v18
	s_delay_alu instid0(VALU_DEP_2) | instskip(NEXT) | instid1(VALU_DEP_2)
	v_lshlrev_b32_e32 v12, v12, v19
	v_cmp_ne_u32_e32 vcc_lo, v14, v16
	v_lshl_or_b32 v16, v13, 12, v8
	s_wait_alu 0xfffd
	v_cndmask_b32_e64 v14, 0, 1, vcc_lo
	v_cmp_ne_u32_e32 vcc_lo, v12, v17
	v_lshl_or_b32 v17, v15, 12, v10
	s_delay_alu instid0(VALU_DEP_3) | instskip(SKIP_3) | instid1(VALU_DEP_2)
	v_or_b32_e32 v14, v18, v14
	s_wait_alu 0xfffd
	v_cndmask_b32_e64 v12, 0, 1, vcc_lo
	v_cmp_gt_i32_e32 vcc_lo, 1, v13
	v_or_b32_e32 v12, v19, v12
	s_wait_alu 0xfffd
	v_cndmask_b32_e32 v14, v16, v14, vcc_lo
	v_cmp_gt_i32_e32 vcc_lo, 1, v15
	s_delay_alu instid0(VALU_DEP_2)
	v_and_b32_e32 v16, 7, v14
	s_wait_alu 0xfffd
	v_cndmask_b32_e32 v12, v17, v12, vcc_lo
	v_cmp_ne_u32_e32 vcc_lo, 0, v8
	v_lshrrev_b32_e32 v14, 2, v14
	v_cmp_eq_u32_e64 s0, 3, v16
	s_delay_alu instid0(VALU_DEP_4)
	v_and_b32_e32 v17, 7, v12
	s_wait_alu 0xfffd
	v_cndmask_b32_e64 v8, 0, 1, vcc_lo
	v_cmp_ne_u32_e32 vcc_lo, 0, v10
	v_lshrrev_b32_e32 v12, 2, v12
	v_cmp_lt_i32_e64 s1, 5, v17
	v_cmp_eq_u32_e64 s2, 3, v17
	s_wait_alu 0xfffd
	v_cndmask_b32_e64 v10, 0, 1, vcc_lo
	v_cmp_lt_i32_e32 vcc_lo, 5, v16
	v_lshl_or_b32 v8, v8, 9, 0x7c00
	s_delay_alu instid0(VALU_DEP_3)
	v_lshl_or_b32 v10, v10, 9, 0x7c00
	s_or_b32 vcc_lo, s0, vcc_lo
	s_wait_alu 0xfffe
	v_add_co_ci_u32_e32 v14, vcc_lo, 0, v14, vcc_lo
	s_or_b32 vcc_lo, s2, s1
	s_wait_alu 0xfffe
	v_add_co_ci_u32_e32 v12, vcc_lo, 0, v12, vcc_lo
	v_cmp_gt_i32_e32 vcc_lo, 31, v13
	s_wait_alu 0xfffd
	v_cndmask_b32_e32 v14, 0x7c00, v14, vcc_lo
	v_cmp_gt_i32_e32 vcc_lo, 31, v15
	s_wait_alu 0xfffd
	v_cndmask_b32_e32 v12, 0x7c00, v12, vcc_lo
	v_cmp_eq_u32_e32 vcc_lo, 0x40f, v13
	s_wait_alu 0xfffd
	v_cndmask_b32_e32 v8, v14, v8, vcc_lo
	v_cmp_eq_u32_e32 vcc_lo, 0x40f, v15
	s_delay_alu instid0(VALU_DEP_2)
	v_and_or_b32 v8, 0x8000, v9, v8
	s_wait_alu 0xfffd
	v_cndmask_b32_e32 v10, v12, v10, vcc_lo
	v_add_co_u32 v6, vcc_lo, v6, s6
	s_wait_alu 0xfffd
	v_add_co_ci_u32_e32 v7, vcc_lo, s7, v7, vcc_lo
	s_delay_alu instid0(VALU_DEP_3) | instskip(SKIP_1) | instid1(VALU_DEP_1)
	v_and_or_b32 v9, 0x8000, v11, v10
	v_and_b32_e32 v8, 0xffff, v8
	v_lshl_or_b32 v8, v9, 16, v8
	global_store_b32 v[6:7], v8, off
	global_load_b32 v10, v39, s[12:13] offset:528
	ds_load_2addr_b32 v[8:9], v43 offset0:132 offset1:176
	s_wait_dscnt 0x0
	v_lshrrev_b32_e32 v11, 16, v8
	s_wait_loadcnt 0x0
	v_lshrrev_b32_e32 v12, 16, v10
	s_delay_alu instid0(VALU_DEP_1) | instskip(SKIP_1) | instid1(VALU_DEP_2)
	v_mul_f16_e32 v13, v11, v12
	v_mul_f16_e32 v12, v8, v12
	v_fmac_f16_e32 v13, v8, v10
	s_delay_alu instid0(VALU_DEP_2) | instskip(NEXT) | instid1(VALU_DEP_2)
	v_fma_f16 v8, v10, v11, -v12
	v_cvt_f32_f16_e32 v10, v13
	s_delay_alu instid0(VALU_DEP_2) | instskip(NEXT) | instid1(VALU_DEP_2)
	v_cvt_f32_f16_e32 v8, v8
	v_cvt_f64_f32_e32 v[10:11], v10
	s_delay_alu instid0(VALU_DEP_2) | instskip(NEXT) | instid1(VALU_DEP_2)
	v_cvt_f64_f32_e32 v[12:13], v8
	v_mul_f64_e32 v[10:11], s[8:9], v[10:11]
	s_delay_alu instid0(VALU_DEP_2) | instskip(NEXT) | instid1(VALU_DEP_2)
	v_mul_f64_e32 v[12:13], s[8:9], v[12:13]
	v_and_or_b32 v8, 0x1ff, v11, v10
	s_delay_alu instid0(VALU_DEP_2)
	v_and_or_b32 v12, 0x1ff, v13, v12
	v_lshrrev_b32_e32 v10, 8, v11
	v_bfe_u32 v14, v11, 20, 11
	v_lshrrev_b32_e32 v15, 8, v13
	v_cmp_ne_u32_e32 vcc_lo, 0, v8
	v_bfe_u32 v16, v13, 20, 11
	v_lshrrev_b32_e32 v11, 16, v11
	v_sub_nc_u32_e32 v17, 0x3f1, v14
	v_add_nc_u32_e32 v14, 0xfffffc10, v14
	s_wait_alu 0xfffd
	v_cndmask_b32_e64 v8, 0, 1, vcc_lo
	v_cmp_ne_u32_e32 vcc_lo, 0, v12
	v_lshrrev_b32_e32 v13, 16, v13
	s_delay_alu instid0(VALU_DEP_3) | instskip(SKIP_4) | instid1(VALU_DEP_3)
	v_and_or_b32 v8, 0xffe, v10, v8
	s_wait_alu 0xfffd
	v_cndmask_b32_e64 v12, 0, 1, vcc_lo
	v_sub_nc_u32_e32 v10, 0x3f1, v16
	v_add_nc_u32_e32 v16, 0xfffffc10, v16
	v_and_or_b32 v12, 0xffe, v15, v12
	v_med3_i32 v15, v17, 0, 13
	v_or_b32_e32 v17, 0x1000, v8
	v_med3_i32 v10, v10, 0, 13
	s_delay_alu instid0(VALU_DEP_4) | instskip(NEXT) | instid1(VALU_DEP_3)
	v_or_b32_e32 v18, 0x1000, v12
	v_lshrrev_b32_e32 v19, v15, v17
	s_delay_alu instid0(VALU_DEP_2) | instskip(NEXT) | instid1(VALU_DEP_2)
	v_lshrrev_b32_e32 v20, v10, v18
	v_lshlrev_b32_e32 v15, v15, v19
	s_delay_alu instid0(VALU_DEP_2) | instskip(NEXT) | instid1(VALU_DEP_2)
	v_lshlrev_b32_e32 v10, v10, v20
	v_cmp_ne_u32_e32 vcc_lo, v15, v17
	v_lshl_or_b32 v17, v14, 12, v8
	s_wait_alu 0xfffd
	v_cndmask_b32_e64 v15, 0, 1, vcc_lo
	v_cmp_ne_u32_e32 vcc_lo, v10, v18
	v_lshl_or_b32 v18, v16, 12, v12
	s_delay_alu instid0(VALU_DEP_3) | instskip(SKIP_3) | instid1(VALU_DEP_2)
	v_or_b32_e32 v15, v19, v15
	s_wait_alu 0xfffd
	v_cndmask_b32_e64 v10, 0, 1, vcc_lo
	v_cmp_gt_i32_e32 vcc_lo, 1, v14
	v_or_b32_e32 v10, v20, v10
	s_wait_alu 0xfffd
	v_cndmask_b32_e32 v15, v17, v15, vcc_lo
	v_cmp_gt_i32_e32 vcc_lo, 1, v16
	s_wait_alu 0xfffd
	s_delay_alu instid0(VALU_DEP_2) | instskip(SKIP_2) | instid1(VALU_DEP_3)
	v_dual_cndmask_b32 v10, v18, v10 :: v_dual_and_b32 v17, 7, v15
	v_cmp_ne_u32_e32 vcc_lo, 0, v8
	v_lshrrev_b32_e32 v15, 2, v15
	v_cmp_eq_u32_e64 s0, 3, v17
	s_delay_alu instid0(VALU_DEP_4)
	v_and_b32_e32 v18, 7, v10
	s_wait_alu 0xfffd
	v_cndmask_b32_e64 v8, 0, 1, vcc_lo
	v_cmp_ne_u32_e32 vcc_lo, 0, v12
	v_lshrrev_b32_e32 v10, 2, v10
	v_cmp_lt_i32_e64 s1, 5, v18
	v_cmp_eq_u32_e64 s2, 3, v18
	s_wait_alu 0xfffd
	v_cndmask_b32_e64 v12, 0, 1, vcc_lo
	v_cmp_lt_i32_e32 vcc_lo, 5, v17
	v_lshl_or_b32 v8, v8, 9, 0x7c00
	s_delay_alu instid0(VALU_DEP_3)
	v_lshl_or_b32 v12, v12, 9, 0x7c00
	s_or_b32 vcc_lo, s0, vcc_lo
	s_wait_alu 0xfffe
	v_add_co_ci_u32_e32 v15, vcc_lo, 0, v15, vcc_lo
	s_or_b32 vcc_lo, s2, s1
	s_wait_alu 0xfffe
	v_add_co_ci_u32_e32 v10, vcc_lo, 0, v10, vcc_lo
	v_cmp_gt_i32_e32 vcc_lo, 31, v14
	s_wait_alu 0xfffd
	v_cndmask_b32_e32 v15, 0x7c00, v15, vcc_lo
	v_cmp_gt_i32_e32 vcc_lo, 31, v16
	s_wait_alu 0xfffd
	v_cndmask_b32_e32 v10, 0x7c00, v10, vcc_lo
	v_cmp_eq_u32_e32 vcc_lo, 0x40f, v14
	s_wait_alu 0xfffd
	v_cndmask_b32_e32 v8, v15, v8, vcc_lo
	v_cmp_eq_u32_e32 vcc_lo, 0x40f, v16
	s_delay_alu instid0(VALU_DEP_2)
	v_and_or_b32 v8, 0x8000, v11, v8
	s_wait_alu 0xfffd
	v_cndmask_b32_e32 v10, v10, v12, vcc_lo
	v_add_co_u32 v6, vcc_lo, v6, s6
	s_wait_alu 0xfffd
	v_add_co_ci_u32_e32 v7, vcc_lo, s7, v7, vcc_lo
	s_delay_alu instid0(VALU_DEP_3) | instskip(SKIP_1) | instid1(VALU_DEP_1)
	v_and_or_b32 v10, 0x8000, v13, v10
	v_and_b32_e32 v8, 0xffff, v8
	v_lshl_or_b32 v8, v10, 16, v8
	v_lshrrev_b32_e32 v10, 16, v9
	global_store_b32 v[6:7], v8, off
	global_load_b32 v8, v39, s[12:13] offset:704
	s_wait_loadcnt 0x0
	v_lshrrev_b32_e32 v11, 16, v8
	s_delay_alu instid0(VALU_DEP_1) | instskip(SKIP_1) | instid1(VALU_DEP_2)
	v_mul_f16_e32 v12, v10, v11
	v_mul_f16_e32 v11, v9, v11
	v_fmac_f16_e32 v12, v9, v8
	s_delay_alu instid0(VALU_DEP_2) | instskip(NEXT) | instid1(VALU_DEP_2)
	v_fma_f16 v8, v8, v10, -v11
	v_cvt_f32_f16_e32 v9, v12
	s_delay_alu instid0(VALU_DEP_2) | instskip(NEXT) | instid1(VALU_DEP_2)
	v_cvt_f32_f16_e32 v10, v8
	v_cvt_f64_f32_e32 v[8:9], v9
	s_delay_alu instid0(VALU_DEP_2) | instskip(NEXT) | instid1(VALU_DEP_2)
	v_cvt_f64_f32_e32 v[10:11], v10
	v_mul_f64_e32 v[8:9], s[8:9], v[8:9]
	s_delay_alu instid0(VALU_DEP_2) | instskip(NEXT) | instid1(VALU_DEP_2)
	v_mul_f64_e32 v[10:11], s[8:9], v[10:11]
	v_and_or_b32 v8, 0x1ff, v9, v8
	s_delay_alu instid0(VALU_DEP_2)
	v_and_or_b32 v10, 0x1ff, v11, v10
	v_lshrrev_b32_e32 v12, 8, v9
	v_bfe_u32 v13, v9, 20, 11
	v_lshrrev_b32_e32 v14, 8, v11
	v_cmp_ne_u32_e32 vcc_lo, 0, v8
	v_bfe_u32 v15, v11, 20, 11
	v_lshrrev_b32_e32 v9, 16, v9
	v_sub_nc_u32_e32 v16, 0x3f1, v13
	v_add_nc_u32_e32 v13, 0xfffffc10, v13
	s_wait_alu 0xfffd
	v_cndmask_b32_e64 v8, 0, 1, vcc_lo
	v_cmp_ne_u32_e32 vcc_lo, 0, v10
	v_lshrrev_b32_e32 v11, 16, v11
	s_delay_alu instid0(VALU_DEP_3) | instskip(SKIP_4) | instid1(VALU_DEP_3)
	v_and_or_b32 v8, 0xffe, v12, v8
	s_wait_alu 0xfffd
	v_cndmask_b32_e64 v10, 0, 1, vcc_lo
	v_sub_nc_u32_e32 v12, 0x3f1, v15
	v_add_nc_u32_e32 v15, 0xfffffc10, v15
	v_and_or_b32 v10, 0xffe, v14, v10
	v_med3_i32 v14, v16, 0, 13
	v_or_b32_e32 v16, 0x1000, v8
	v_med3_i32 v12, v12, 0, 13
	s_delay_alu instid0(VALU_DEP_4) | instskip(NEXT) | instid1(VALU_DEP_3)
	v_or_b32_e32 v17, 0x1000, v10
	v_lshrrev_b32_e32 v18, v14, v16
	s_delay_alu instid0(VALU_DEP_2) | instskip(NEXT) | instid1(VALU_DEP_2)
	v_lshrrev_b32_e32 v19, v12, v17
	v_lshlrev_b32_e32 v14, v14, v18
	s_delay_alu instid0(VALU_DEP_2) | instskip(NEXT) | instid1(VALU_DEP_2)
	v_lshlrev_b32_e32 v12, v12, v19
	v_cmp_ne_u32_e32 vcc_lo, v14, v16
	v_lshl_or_b32 v16, v13, 12, v8
	s_wait_alu 0xfffd
	v_cndmask_b32_e64 v14, 0, 1, vcc_lo
	v_cmp_ne_u32_e32 vcc_lo, v12, v17
	v_lshl_or_b32 v17, v15, 12, v10
	s_delay_alu instid0(VALU_DEP_3) | instskip(SKIP_3) | instid1(VALU_DEP_2)
	v_or_b32_e32 v14, v18, v14
	s_wait_alu 0xfffd
	v_cndmask_b32_e64 v12, 0, 1, vcc_lo
	v_cmp_gt_i32_e32 vcc_lo, 1, v13
	v_or_b32_e32 v12, v19, v12
	s_wait_alu 0xfffd
	v_cndmask_b32_e32 v14, v16, v14, vcc_lo
	v_cmp_gt_i32_e32 vcc_lo, 1, v15
	s_delay_alu instid0(VALU_DEP_2)
	v_and_b32_e32 v16, 7, v14
	s_wait_alu 0xfffd
	v_cndmask_b32_e32 v12, v17, v12, vcc_lo
	v_cmp_ne_u32_e32 vcc_lo, 0, v8
	v_lshrrev_b32_e32 v14, 2, v14
	v_cmp_eq_u32_e64 s0, 3, v16
	s_delay_alu instid0(VALU_DEP_4)
	v_and_b32_e32 v17, 7, v12
	s_wait_alu 0xfffd
	v_cndmask_b32_e64 v8, 0, 1, vcc_lo
	v_cmp_ne_u32_e32 vcc_lo, 0, v10
	v_lshrrev_b32_e32 v12, 2, v12
	v_cmp_lt_i32_e64 s1, 5, v17
	v_cmp_eq_u32_e64 s2, 3, v17
	s_wait_alu 0xfffd
	v_cndmask_b32_e64 v10, 0, 1, vcc_lo
	v_cmp_lt_i32_e32 vcc_lo, 5, v16
	v_lshl_or_b32 v8, v8, 9, 0x7c00
	s_delay_alu instid0(VALU_DEP_3)
	v_lshl_or_b32 v10, v10, 9, 0x7c00
	s_or_b32 vcc_lo, s0, vcc_lo
	s_wait_alu 0xfffe
	v_add_co_ci_u32_e32 v14, vcc_lo, 0, v14, vcc_lo
	s_or_b32 vcc_lo, s2, s1
	s_wait_alu 0xfffe
	v_add_co_ci_u32_e32 v12, vcc_lo, 0, v12, vcc_lo
	v_cmp_gt_i32_e32 vcc_lo, 31, v13
	s_wait_alu 0xfffd
	v_cndmask_b32_e32 v14, 0x7c00, v14, vcc_lo
	v_cmp_gt_i32_e32 vcc_lo, 31, v15
	s_wait_alu 0xfffd
	v_cndmask_b32_e32 v12, 0x7c00, v12, vcc_lo
	v_cmp_eq_u32_e32 vcc_lo, 0x40f, v13
	s_wait_alu 0xfffd
	v_cndmask_b32_e32 v8, v14, v8, vcc_lo
	v_cmp_eq_u32_e32 vcc_lo, 0x40f, v15
	s_delay_alu instid0(VALU_DEP_2)
	v_and_or_b32 v8, 0x8000, v9, v8
	s_wait_alu 0xfffd
	v_cndmask_b32_e32 v10, v12, v10, vcc_lo
	v_add_co_u32 v6, vcc_lo, v6, s6
	s_wait_alu 0xfffd
	v_add_co_ci_u32_e32 v7, vcc_lo, s7, v7, vcc_lo
	s_delay_alu instid0(VALU_DEP_3) | instskip(SKIP_1) | instid1(VALU_DEP_1)
	v_and_or_b32 v9, 0x8000, v11, v10
	v_and_b32_e32 v8, 0xffff, v8
	v_lshl_or_b32 v8, v9, 16, v8
	global_store_b32 v[6:7], v8, off
	global_load_b32 v10, v39, s[12:13] offset:880
	ds_load_2addr_b32 v[8:9], v5 offset0:92 offset1:136
	s_wait_dscnt 0x0
	v_lshrrev_b32_e32 v5, 16, v8
	s_wait_loadcnt 0x0
	v_lshrrev_b32_e32 v11, 16, v10
	s_delay_alu instid0(VALU_DEP_1) | instskip(SKIP_1) | instid1(VALU_DEP_2)
	v_mul_f16_e32 v12, v5, v11
	v_mul_f16_e32 v11, v8, v11
	v_fmac_f16_e32 v12, v8, v10
	s_delay_alu instid0(VALU_DEP_2) | instskip(NEXT) | instid1(VALU_DEP_2)
	v_fma_f16 v5, v10, v5, -v11
	v_cvt_f32_f16_e32 v8, v12
	s_delay_alu instid0(VALU_DEP_2) | instskip(NEXT) | instid1(VALU_DEP_2)
	v_cvt_f32_f16_e32 v5, v5
	v_cvt_f64_f32_e32 v[10:11], v8
	s_delay_alu instid0(VALU_DEP_2) | instskip(NEXT) | instid1(VALU_DEP_2)
	v_cvt_f64_f32_e32 v[12:13], v5
	v_mul_f64_e32 v[10:11], s[8:9], v[10:11]
	s_delay_alu instid0(VALU_DEP_2) | instskip(NEXT) | instid1(VALU_DEP_2)
	v_mul_f64_e32 v[12:13], s[8:9], v[12:13]
	v_and_or_b32 v5, 0x1ff, v11, v10
	s_delay_alu instid0(VALU_DEP_2)
	v_and_or_b32 v12, 0x1ff, v13, v12
	v_lshrrev_b32_e32 v8, 8, v11
	v_bfe_u32 v10, v11, 20, 11
	v_lshrrev_b32_e32 v14, 8, v13
	v_cmp_ne_u32_e32 vcc_lo, 0, v5
	v_bfe_u32 v15, v13, 20, 11
	v_lshrrev_b32_e32 v11, 16, v11
	v_sub_nc_u32_e32 v16, 0x3f1, v10
	v_add_nc_u32_e32 v10, 0xfffffc10, v10
	s_wait_alu 0xfffd
	v_cndmask_b32_e64 v5, 0, 1, vcc_lo
	v_cmp_ne_u32_e32 vcc_lo, 0, v12
	s_delay_alu instid0(VALU_DEP_2) | instskip(SKIP_4) | instid1(VALU_DEP_3)
	v_and_or_b32 v5, 0xffe, v8, v5
	s_wait_alu 0xfffd
	v_cndmask_b32_e64 v12, 0, 1, vcc_lo
	v_sub_nc_u32_e32 v8, 0x3f1, v15
	v_add_nc_u32_e32 v15, 0xfffffc10, v15
	v_and_or_b32 v12, 0xffe, v14, v12
	v_med3_i32 v14, v16, 0, 13
	v_or_b32_e32 v16, 0x1000, v5
	v_med3_i32 v8, v8, 0, 13
	s_delay_alu instid0(VALU_DEP_4) | instskip(NEXT) | instid1(VALU_DEP_3)
	v_or_b32_e32 v17, 0x1000, v12
	v_lshrrev_b32_e32 v18, v14, v16
	s_delay_alu instid0(VALU_DEP_2) | instskip(NEXT) | instid1(VALU_DEP_2)
	v_lshrrev_b32_e32 v19, v8, v17
	v_lshlrev_b32_e32 v14, v14, v18
	s_delay_alu instid0(VALU_DEP_2) | instskip(NEXT) | instid1(VALU_DEP_2)
	v_lshlrev_b32_e32 v8, v8, v19
	v_cmp_ne_u32_e32 vcc_lo, v14, v16
	v_lshl_or_b32 v16, v10, 12, v5
	s_wait_alu 0xfffd
	v_cndmask_b32_e64 v14, 0, 1, vcc_lo
	v_cmp_ne_u32_e32 vcc_lo, v8, v17
	v_lshl_or_b32 v17, v15, 12, v12
	s_delay_alu instid0(VALU_DEP_3) | instskip(SKIP_3) | instid1(VALU_DEP_2)
	v_or_b32_e32 v14, v18, v14
	s_wait_alu 0xfffd
	v_cndmask_b32_e64 v8, 0, 1, vcc_lo
	v_cmp_gt_i32_e32 vcc_lo, 1, v10
	v_or_b32_e32 v8, v19, v8
	s_wait_alu 0xfffd
	v_cndmask_b32_e32 v14, v16, v14, vcc_lo
	v_cmp_gt_i32_e32 vcc_lo, 1, v15
	s_delay_alu instid0(VALU_DEP_2)
	v_and_b32_e32 v16, 7, v14
	s_wait_alu 0xfffd
	v_cndmask_b32_e32 v8, v17, v8, vcc_lo
	v_cmp_ne_u32_e32 vcc_lo, 0, v5
	v_lshrrev_b32_e32 v14, 2, v14
	v_cmp_eq_u32_e64 s0, 3, v16
	s_delay_alu instid0(VALU_DEP_4)
	v_and_b32_e32 v17, 7, v8
	s_wait_alu 0xfffd
	v_cndmask_b32_e64 v5, 0, 1, vcc_lo
	v_cmp_ne_u32_e32 vcc_lo, 0, v12
	v_lshrrev_b32_e32 v8, 2, v8
	v_cmp_lt_i32_e64 s1, 5, v17
	v_cmp_eq_u32_e64 s2, 3, v17
	s_wait_alu 0xfffd
	v_cndmask_b32_e64 v12, 0, 1, vcc_lo
	v_cmp_lt_i32_e32 vcc_lo, 5, v16
	v_lshl_or_b32 v5, v5, 9, 0x7c00
	s_delay_alu instid0(VALU_DEP_3)
	v_lshl_or_b32 v12, v12, 9, 0x7c00
	s_or_b32 vcc_lo, s0, vcc_lo
	s_wait_alu 0xfffe
	v_add_co_ci_u32_e32 v14, vcc_lo, 0, v14, vcc_lo
	s_or_b32 vcc_lo, s2, s1
	s_wait_alu 0xfffe
	v_add_co_ci_u32_e32 v8, vcc_lo, 0, v8, vcc_lo
	v_cmp_gt_i32_e32 vcc_lo, 31, v10
	s_wait_alu 0xfffd
	v_cndmask_b32_e32 v14, 0x7c00, v14, vcc_lo
	v_cmp_gt_i32_e32 vcc_lo, 31, v15
	s_wait_alu 0xfffd
	v_cndmask_b32_e32 v8, 0x7c00, v8, vcc_lo
	v_cmp_eq_u32_e32 vcc_lo, 0x40f, v10
	v_lshrrev_b32_e32 v10, 16, v13
	s_wait_alu 0xfffd
	v_cndmask_b32_e32 v5, v14, v5, vcc_lo
	v_cmp_eq_u32_e32 vcc_lo, 0x40f, v15
	s_delay_alu instid0(VALU_DEP_2) | instskip(SKIP_2) | instid1(VALU_DEP_1)
	v_and_or_b32 v5, 0x8000, v11, v5
	s_wait_alu 0xfffd
	v_cndmask_b32_e32 v8, v8, v12, vcc_lo
	v_and_or_b32 v8, 0x8000, v10, v8
	s_delay_alu instid0(VALU_DEP_3) | instskip(SKIP_3) | instid1(VALU_DEP_3)
	v_and_b32_e32 v10, 0xffff, v5
	v_add_co_u32 v5, vcc_lo, v6, s6
	s_wait_alu 0xfffd
	v_add_co_ci_u32_e32 v6, vcc_lo, s7, v7, vcc_lo
	v_lshl_or_b32 v7, v8, 16, v10
	v_lshrrev_b32_e32 v8, 16, v9
	global_store_b32 v[5:6], v7, off
	global_load_b32 v7, v39, s[12:13] offset:1056
	s_wait_loadcnt 0x0
	v_lshrrev_b32_e32 v10, 16, v7
	s_delay_alu instid0(VALU_DEP_1) | instskip(SKIP_1) | instid1(VALU_DEP_2)
	v_mul_f16_e32 v11, v8, v10
	v_mul_f16_e32 v10, v9, v10
	v_fmac_f16_e32 v11, v9, v7
	s_delay_alu instid0(VALU_DEP_2) | instskip(NEXT) | instid1(VALU_DEP_2)
	v_fma_f16 v7, v7, v8, -v10
	v_cvt_f32_f16_e32 v8, v11
	s_delay_alu instid0(VALU_DEP_2) | instskip(NEXT) | instid1(VALU_DEP_2)
	v_cvt_f32_f16_e32 v9, v7
	v_cvt_f64_f32_e32 v[7:8], v8
	s_delay_alu instid0(VALU_DEP_2) | instskip(NEXT) | instid1(VALU_DEP_2)
	v_cvt_f64_f32_e32 v[9:10], v9
	v_mul_f64_e32 v[7:8], s[8:9], v[7:8]
	s_delay_alu instid0(VALU_DEP_2) | instskip(NEXT) | instid1(VALU_DEP_2)
	v_mul_f64_e32 v[9:10], s[8:9], v[9:10]
	v_and_or_b32 v7, 0x1ff, v8, v7
	s_delay_alu instid0(VALU_DEP_2)
	v_and_or_b32 v9, 0x1ff, v10, v9
	v_lshrrev_b32_e32 v11, 8, v8
	v_bfe_u32 v12, v8, 20, 11
	v_lshrrev_b32_e32 v13, 8, v10
	v_cmp_ne_u32_e32 vcc_lo, 0, v7
	v_bfe_u32 v14, v10, 20, 11
	v_lshrrev_b32_e32 v8, 16, v8
	v_sub_nc_u32_e32 v15, 0x3f1, v12
	v_add_nc_u32_e32 v12, 0xfffffc10, v12
	s_wait_alu 0xfffd
	v_cndmask_b32_e64 v7, 0, 1, vcc_lo
	v_cmp_ne_u32_e32 vcc_lo, 0, v9
	v_lshrrev_b32_e32 v10, 16, v10
	s_delay_alu instid0(VALU_DEP_3) | instskip(SKIP_4) | instid1(VALU_DEP_3)
	v_and_or_b32 v7, 0xffe, v11, v7
	s_wait_alu 0xfffd
	v_cndmask_b32_e64 v9, 0, 1, vcc_lo
	v_sub_nc_u32_e32 v11, 0x3f1, v14
	v_add_nc_u32_e32 v14, 0xfffffc10, v14
	v_and_or_b32 v9, 0xffe, v13, v9
	v_med3_i32 v13, v15, 0, 13
	v_or_b32_e32 v15, 0x1000, v7
	v_med3_i32 v11, v11, 0, 13
	s_delay_alu instid0(VALU_DEP_4) | instskip(NEXT) | instid1(VALU_DEP_3)
	v_or_b32_e32 v16, 0x1000, v9
	v_lshrrev_b32_e32 v17, v13, v15
	s_delay_alu instid0(VALU_DEP_2) | instskip(NEXT) | instid1(VALU_DEP_2)
	v_lshrrev_b32_e32 v18, v11, v16
	v_lshlrev_b32_e32 v13, v13, v17
	s_delay_alu instid0(VALU_DEP_2) | instskip(NEXT) | instid1(VALU_DEP_2)
	v_lshlrev_b32_e32 v11, v11, v18
	v_cmp_ne_u32_e32 vcc_lo, v13, v15
	v_lshl_or_b32 v15, v12, 12, v7
	s_wait_alu 0xfffd
	v_cndmask_b32_e64 v13, 0, 1, vcc_lo
	v_cmp_ne_u32_e32 vcc_lo, v11, v16
	v_lshl_or_b32 v16, v14, 12, v9
	s_delay_alu instid0(VALU_DEP_3) | instskip(SKIP_3) | instid1(VALU_DEP_2)
	v_or_b32_e32 v13, v17, v13
	s_wait_alu 0xfffd
	v_cndmask_b32_e64 v11, 0, 1, vcc_lo
	v_cmp_gt_i32_e32 vcc_lo, 1, v12
	v_or_b32_e32 v11, v18, v11
	s_wait_alu 0xfffd
	v_cndmask_b32_e32 v13, v15, v13, vcc_lo
	v_cmp_gt_i32_e32 vcc_lo, 1, v14
	s_delay_alu instid0(VALU_DEP_2)
	v_and_b32_e32 v15, 7, v13
	s_wait_alu 0xfffd
	v_cndmask_b32_e32 v11, v16, v11, vcc_lo
	v_cmp_ne_u32_e32 vcc_lo, 0, v7
	v_lshrrev_b32_e32 v13, 2, v13
	v_cmp_eq_u32_e64 s0, 3, v15
	s_delay_alu instid0(VALU_DEP_4)
	v_and_b32_e32 v16, 7, v11
	s_wait_alu 0xfffd
	v_cndmask_b32_e64 v7, 0, 1, vcc_lo
	v_cmp_ne_u32_e32 vcc_lo, 0, v9
	v_lshrrev_b32_e32 v11, 2, v11
	v_cmp_lt_i32_e64 s1, 5, v16
	v_cmp_eq_u32_e64 s2, 3, v16
	s_wait_alu 0xfffd
	v_cndmask_b32_e64 v9, 0, 1, vcc_lo
	v_cmp_lt_i32_e32 vcc_lo, 5, v15
	v_lshl_or_b32 v7, v7, 9, 0x7c00
	s_delay_alu instid0(VALU_DEP_3)
	v_lshl_or_b32 v9, v9, 9, 0x7c00
	s_or_b32 vcc_lo, s0, vcc_lo
	s_wait_alu 0xfffe
	v_add_co_ci_u32_e32 v13, vcc_lo, 0, v13, vcc_lo
	s_or_b32 vcc_lo, s2, s1
	s_wait_alu 0xfffe
	v_add_co_ci_u32_e32 v11, vcc_lo, 0, v11, vcc_lo
	v_cmp_gt_i32_e32 vcc_lo, 31, v12
	s_wait_alu 0xfffd
	v_cndmask_b32_e32 v13, 0x7c00, v13, vcc_lo
	v_cmp_gt_i32_e32 vcc_lo, 31, v14
	s_wait_alu 0xfffd
	v_cndmask_b32_e32 v11, 0x7c00, v11, vcc_lo
	v_cmp_eq_u32_e32 vcc_lo, 0x40f, v12
	s_wait_alu 0xfffd
	v_cndmask_b32_e32 v7, v13, v7, vcc_lo
	v_cmp_eq_u32_e32 vcc_lo, 0x40f, v14
	s_delay_alu instid0(VALU_DEP_2)
	v_and_or_b32 v7, 0x8000, v8, v7
	s_wait_alu 0xfffd
	v_cndmask_b32_e32 v9, v11, v9, vcc_lo
	v_add_co_u32 v5, vcc_lo, v5, s6
	s_wait_alu 0xfffd
	v_add_co_ci_u32_e32 v6, vcc_lo, s7, v6, vcc_lo
	s_delay_alu instid0(VALU_DEP_3) | instskip(SKIP_1) | instid1(VALU_DEP_1)
	v_and_or_b32 v8, 0x8000, v10, v9
	v_and_b32_e32 v7, 0xffff, v7
	v_lshl_or_b32 v7, v8, 16, v7
	global_store_b32 v[5:6], v7, off
	global_load_b32 v9, v39, s[12:13] offset:1232
	ds_load_2addr_b32 v[7:8], v4 offset0:52 offset1:96
	s_wait_dscnt 0x0
	v_lshrrev_b32_e32 v10, 16, v7
	s_wait_loadcnt 0x0
	v_lshrrev_b32_e32 v11, 16, v9
	s_delay_alu instid0(VALU_DEP_1) | instskip(SKIP_1) | instid1(VALU_DEP_2)
	v_mul_f16_e32 v12, v10, v11
	v_mul_f16_e32 v11, v7, v11
	v_fmac_f16_e32 v12, v7, v9
	s_delay_alu instid0(VALU_DEP_2) | instskip(NEXT) | instid1(VALU_DEP_2)
	v_fma_f16 v7, v9, v10, -v11
	v_cvt_f32_f16_e32 v9, v12
	s_delay_alu instid0(VALU_DEP_2) | instskip(NEXT) | instid1(VALU_DEP_2)
	v_cvt_f32_f16_e32 v7, v7
	v_cvt_f64_f32_e32 v[9:10], v9
	s_delay_alu instid0(VALU_DEP_2) | instskip(NEXT) | instid1(VALU_DEP_2)
	v_cvt_f64_f32_e32 v[11:12], v7
	v_mul_f64_e32 v[9:10], s[8:9], v[9:10]
	s_delay_alu instid0(VALU_DEP_2) | instskip(NEXT) | instid1(VALU_DEP_2)
	v_mul_f64_e32 v[11:12], s[8:9], v[11:12]
	v_and_or_b32 v7, 0x1ff, v10, v9
	s_delay_alu instid0(VALU_DEP_2)
	v_and_or_b32 v11, 0x1ff, v12, v11
	v_lshrrev_b32_e32 v9, 8, v10
	v_bfe_u32 v13, v10, 20, 11
	v_lshrrev_b32_e32 v14, 8, v12
	v_cmp_ne_u32_e32 vcc_lo, 0, v7
	v_bfe_u32 v15, v12, 20, 11
	v_lshrrev_b32_e32 v10, 16, v10
	v_sub_nc_u32_e32 v16, 0x3f1, v13
	v_add_nc_u32_e32 v13, 0xfffffc10, v13
	s_wait_alu 0xfffd
	v_cndmask_b32_e64 v7, 0, 1, vcc_lo
	v_cmp_ne_u32_e32 vcc_lo, 0, v11
	v_lshrrev_b32_e32 v12, 16, v12
	s_delay_alu instid0(VALU_DEP_3) | instskip(SKIP_4) | instid1(VALU_DEP_3)
	v_and_or_b32 v7, 0xffe, v9, v7
	s_wait_alu 0xfffd
	v_cndmask_b32_e64 v11, 0, 1, vcc_lo
	v_sub_nc_u32_e32 v9, 0x3f1, v15
	v_add_nc_u32_e32 v15, 0xfffffc10, v15
	v_and_or_b32 v11, 0xffe, v14, v11
	v_med3_i32 v14, v16, 0, 13
	v_or_b32_e32 v16, 0x1000, v7
	v_med3_i32 v9, v9, 0, 13
	s_delay_alu instid0(VALU_DEP_4) | instskip(NEXT) | instid1(VALU_DEP_3)
	v_or_b32_e32 v17, 0x1000, v11
	v_lshrrev_b32_e32 v18, v14, v16
	s_delay_alu instid0(VALU_DEP_2) | instskip(NEXT) | instid1(VALU_DEP_2)
	v_lshrrev_b32_e32 v19, v9, v17
	v_lshlrev_b32_e32 v14, v14, v18
	s_delay_alu instid0(VALU_DEP_2) | instskip(NEXT) | instid1(VALU_DEP_2)
	v_lshlrev_b32_e32 v9, v9, v19
	v_cmp_ne_u32_e32 vcc_lo, v14, v16
	v_lshl_or_b32 v16, v13, 12, v7
	s_wait_alu 0xfffd
	v_cndmask_b32_e64 v14, 0, 1, vcc_lo
	v_cmp_ne_u32_e32 vcc_lo, v9, v17
	v_lshl_or_b32 v17, v15, 12, v11
	s_delay_alu instid0(VALU_DEP_3) | instskip(SKIP_3) | instid1(VALU_DEP_2)
	v_or_b32_e32 v14, v18, v14
	s_wait_alu 0xfffd
	v_cndmask_b32_e64 v9, 0, 1, vcc_lo
	v_cmp_gt_i32_e32 vcc_lo, 1, v13
	v_or_b32_e32 v9, v19, v9
	s_wait_alu 0xfffd
	v_cndmask_b32_e32 v14, v16, v14, vcc_lo
	v_cmp_gt_i32_e32 vcc_lo, 1, v15
	s_wait_alu 0xfffd
	s_delay_alu instid0(VALU_DEP_2) | instskip(SKIP_2) | instid1(VALU_DEP_3)
	v_dual_cndmask_b32 v9, v17, v9 :: v_dual_and_b32 v16, 7, v14
	v_cmp_ne_u32_e32 vcc_lo, 0, v7
	v_lshrrev_b32_e32 v14, 2, v14
	v_cmp_eq_u32_e64 s0, 3, v16
	s_delay_alu instid0(VALU_DEP_4)
	v_and_b32_e32 v17, 7, v9
	s_wait_alu 0xfffd
	v_cndmask_b32_e64 v7, 0, 1, vcc_lo
	v_cmp_ne_u32_e32 vcc_lo, 0, v11
	v_lshrrev_b32_e32 v9, 2, v9
	v_cmp_lt_i32_e64 s1, 5, v17
	v_cmp_eq_u32_e64 s2, 3, v17
	s_wait_alu 0xfffd
	v_cndmask_b32_e64 v11, 0, 1, vcc_lo
	v_cmp_lt_i32_e32 vcc_lo, 5, v16
	v_lshl_or_b32 v7, v7, 9, 0x7c00
	s_delay_alu instid0(VALU_DEP_3)
	v_lshl_or_b32 v11, v11, 9, 0x7c00
	s_or_b32 vcc_lo, s0, vcc_lo
	s_wait_alu 0xfffe
	v_add_co_ci_u32_e32 v14, vcc_lo, 0, v14, vcc_lo
	s_or_b32 vcc_lo, s2, s1
	s_wait_alu 0xfffe
	v_add_co_ci_u32_e32 v9, vcc_lo, 0, v9, vcc_lo
	v_cmp_gt_i32_e32 vcc_lo, 31, v13
	s_wait_alu 0xfffd
	v_cndmask_b32_e32 v14, 0x7c00, v14, vcc_lo
	v_cmp_gt_i32_e32 vcc_lo, 31, v15
	s_wait_alu 0xfffd
	v_cndmask_b32_e32 v9, 0x7c00, v9, vcc_lo
	v_cmp_eq_u32_e32 vcc_lo, 0x40f, v13
	s_wait_alu 0xfffd
	v_cndmask_b32_e32 v7, v14, v7, vcc_lo
	v_cmp_eq_u32_e32 vcc_lo, 0x40f, v15
	s_delay_alu instid0(VALU_DEP_2)
	v_and_or_b32 v7, 0x8000, v10, v7
	s_wait_alu 0xfffd
	v_cndmask_b32_e32 v9, v9, v11, vcc_lo
	v_add_co_u32 v5, vcc_lo, v5, s6
	s_wait_alu 0xfffd
	v_add_co_ci_u32_e32 v6, vcc_lo, s7, v6, vcc_lo
	s_delay_alu instid0(VALU_DEP_3) | instskip(SKIP_1) | instid1(VALU_DEP_1)
	v_and_or_b32 v9, 0x8000, v12, v9
	v_and_b32_e32 v7, 0xffff, v7
	v_lshl_or_b32 v7, v9, 16, v7
	v_lshrrev_b32_e32 v9, 16, v8
	global_store_b32 v[5:6], v7, off
	global_load_b32 v7, v39, s[12:13] offset:1408
	s_wait_loadcnt 0x0
	v_lshrrev_b32_e32 v10, 16, v7
	s_delay_alu instid0(VALU_DEP_1) | instskip(SKIP_1) | instid1(VALU_DEP_2)
	v_mul_f16_e32 v11, v9, v10
	v_mul_f16_e32 v10, v8, v10
	v_fmac_f16_e32 v11, v8, v7
	s_delay_alu instid0(VALU_DEP_2) | instskip(NEXT) | instid1(VALU_DEP_2)
	v_fma_f16 v7, v7, v9, -v10
	v_cvt_f32_f16_e32 v8, v11
	s_delay_alu instid0(VALU_DEP_2) | instskip(NEXT) | instid1(VALU_DEP_2)
	v_cvt_f32_f16_e32 v9, v7
	v_cvt_f64_f32_e32 v[7:8], v8
	s_delay_alu instid0(VALU_DEP_2) | instskip(NEXT) | instid1(VALU_DEP_2)
	v_cvt_f64_f32_e32 v[9:10], v9
	v_mul_f64_e32 v[7:8], s[8:9], v[7:8]
	s_delay_alu instid0(VALU_DEP_2) | instskip(NEXT) | instid1(VALU_DEP_2)
	v_mul_f64_e32 v[9:10], s[8:9], v[9:10]
	v_and_or_b32 v7, 0x1ff, v8, v7
	s_delay_alu instid0(VALU_DEP_2)
	v_and_or_b32 v9, 0x1ff, v10, v9
	v_lshrrev_b32_e32 v11, 8, v8
	v_bfe_u32 v12, v8, 20, 11
	v_lshrrev_b32_e32 v13, 8, v10
	v_cmp_ne_u32_e32 vcc_lo, 0, v7
	v_bfe_u32 v14, v10, 20, 11
	v_lshrrev_b32_e32 v8, 16, v8
	v_sub_nc_u32_e32 v15, 0x3f1, v12
	v_add_nc_u32_e32 v12, 0xfffffc10, v12
	s_wait_alu 0xfffd
	v_cndmask_b32_e64 v7, 0, 1, vcc_lo
	v_cmp_ne_u32_e32 vcc_lo, 0, v9
	v_lshrrev_b32_e32 v10, 16, v10
	s_delay_alu instid0(VALU_DEP_3) | instskip(SKIP_4) | instid1(VALU_DEP_3)
	v_and_or_b32 v7, 0xffe, v11, v7
	s_wait_alu 0xfffd
	v_cndmask_b32_e64 v9, 0, 1, vcc_lo
	v_sub_nc_u32_e32 v11, 0x3f1, v14
	v_add_nc_u32_e32 v14, 0xfffffc10, v14
	v_and_or_b32 v9, 0xffe, v13, v9
	v_med3_i32 v13, v15, 0, 13
	v_or_b32_e32 v15, 0x1000, v7
	v_med3_i32 v11, v11, 0, 13
	s_delay_alu instid0(VALU_DEP_4) | instskip(NEXT) | instid1(VALU_DEP_3)
	v_or_b32_e32 v16, 0x1000, v9
	v_lshrrev_b32_e32 v17, v13, v15
	s_delay_alu instid0(VALU_DEP_2) | instskip(NEXT) | instid1(VALU_DEP_2)
	v_lshrrev_b32_e32 v18, v11, v16
	v_lshlrev_b32_e32 v13, v13, v17
	s_delay_alu instid0(VALU_DEP_2) | instskip(NEXT) | instid1(VALU_DEP_2)
	v_lshlrev_b32_e32 v11, v11, v18
	v_cmp_ne_u32_e32 vcc_lo, v13, v15
	v_lshl_or_b32 v15, v12, 12, v7
	s_wait_alu 0xfffd
	v_cndmask_b32_e64 v13, 0, 1, vcc_lo
	v_cmp_ne_u32_e32 vcc_lo, v11, v16
	v_lshl_or_b32 v16, v14, 12, v9
	s_delay_alu instid0(VALU_DEP_3) | instskip(SKIP_3) | instid1(VALU_DEP_2)
	v_or_b32_e32 v13, v17, v13
	s_wait_alu 0xfffd
	v_cndmask_b32_e64 v11, 0, 1, vcc_lo
	v_cmp_gt_i32_e32 vcc_lo, 1, v12
	v_or_b32_e32 v11, v18, v11
	s_wait_alu 0xfffd
	v_cndmask_b32_e32 v13, v15, v13, vcc_lo
	v_cmp_gt_i32_e32 vcc_lo, 1, v14
	s_delay_alu instid0(VALU_DEP_2)
	v_and_b32_e32 v15, 7, v13
	s_wait_alu 0xfffd
	v_cndmask_b32_e32 v11, v16, v11, vcc_lo
	v_cmp_ne_u32_e32 vcc_lo, 0, v7
	v_lshrrev_b32_e32 v13, 2, v13
	v_cmp_eq_u32_e64 s0, 3, v15
	s_delay_alu instid0(VALU_DEP_4)
	v_and_b32_e32 v16, 7, v11
	s_wait_alu 0xfffd
	v_cndmask_b32_e64 v7, 0, 1, vcc_lo
	v_cmp_ne_u32_e32 vcc_lo, 0, v9
	v_lshrrev_b32_e32 v11, 2, v11
	v_cmp_lt_i32_e64 s1, 5, v16
	v_cmp_eq_u32_e64 s2, 3, v16
	s_wait_alu 0xfffd
	v_cndmask_b32_e64 v9, 0, 1, vcc_lo
	v_cmp_lt_i32_e32 vcc_lo, 5, v15
	v_lshl_or_b32 v7, v7, 9, 0x7c00
	s_delay_alu instid0(VALU_DEP_3)
	v_lshl_or_b32 v9, v9, 9, 0x7c00
	s_or_b32 vcc_lo, s0, vcc_lo
	s_wait_alu 0xfffe
	v_add_co_ci_u32_e32 v13, vcc_lo, 0, v13, vcc_lo
	s_or_b32 vcc_lo, s2, s1
	s_wait_alu 0xfffe
	v_add_co_ci_u32_e32 v11, vcc_lo, 0, v11, vcc_lo
	v_cmp_gt_i32_e32 vcc_lo, 31, v12
	s_wait_alu 0xfffd
	v_cndmask_b32_e32 v13, 0x7c00, v13, vcc_lo
	v_cmp_gt_i32_e32 vcc_lo, 31, v14
	s_wait_alu 0xfffd
	v_cndmask_b32_e32 v11, 0x7c00, v11, vcc_lo
	v_cmp_eq_u32_e32 vcc_lo, 0x40f, v12
	s_wait_alu 0xfffd
	v_cndmask_b32_e32 v7, v13, v7, vcc_lo
	v_cmp_eq_u32_e32 vcc_lo, 0x40f, v14
	s_delay_alu instid0(VALU_DEP_2)
	v_and_or_b32 v7, 0x8000, v8, v7
	s_wait_alu 0xfffd
	v_cndmask_b32_e32 v9, v11, v9, vcc_lo
	v_add_co_u32 v5, vcc_lo, v5, s6
	s_wait_alu 0xfffd
	v_add_co_ci_u32_e32 v6, vcc_lo, s7, v6, vcc_lo
	s_delay_alu instid0(VALU_DEP_3) | instskip(SKIP_1) | instid1(VALU_DEP_1)
	v_and_or_b32 v8, 0x8000, v10, v9
	v_and_b32_e32 v7, 0xffff, v7
	v_lshl_or_b32 v7, v8, 16, v7
	global_store_b32 v[5:6], v7, off
	global_load_b32 v9, v39, s[12:13] offset:1584
	ds_load_2addr_b32 v[7:8], v4 offset0:140 offset1:184
	s_wait_dscnt 0x0
	v_lshrrev_b32_e32 v4, 16, v7
	s_wait_loadcnt 0x0
	v_lshrrev_b32_e32 v10, 16, v9
	s_delay_alu instid0(VALU_DEP_1) | instskip(SKIP_1) | instid1(VALU_DEP_2)
	v_mul_f16_e32 v11, v4, v10
	v_mul_f16_e32 v10, v7, v10
	v_fmac_f16_e32 v11, v7, v9
	s_delay_alu instid0(VALU_DEP_2) | instskip(NEXT) | instid1(VALU_DEP_2)
	v_fma_f16 v4, v9, v4, -v10
	v_cvt_f32_f16_e32 v7, v11
	s_delay_alu instid0(VALU_DEP_2) | instskip(NEXT) | instid1(VALU_DEP_2)
	v_cvt_f32_f16_e32 v4, v4
	v_cvt_f64_f32_e32 v[9:10], v7
	s_delay_alu instid0(VALU_DEP_2) | instskip(NEXT) | instid1(VALU_DEP_2)
	v_cvt_f64_f32_e32 v[11:12], v4
	v_mul_f64_e32 v[9:10], s[8:9], v[9:10]
	s_delay_alu instid0(VALU_DEP_2) | instskip(NEXT) | instid1(VALU_DEP_2)
	v_mul_f64_e32 v[11:12], s[8:9], v[11:12]
	v_and_or_b32 v4, 0x1ff, v10, v9
	s_delay_alu instid0(VALU_DEP_2)
	v_and_or_b32 v11, 0x1ff, v12, v11
	v_lshrrev_b32_e32 v7, 8, v10
	v_bfe_u32 v9, v10, 20, 11
	v_lshrrev_b32_e32 v13, 8, v12
	v_cmp_ne_u32_e32 vcc_lo, 0, v4
	v_bfe_u32 v14, v12, 20, 11
	v_lshrrev_b32_e32 v10, 16, v10
	v_sub_nc_u32_e32 v15, 0x3f1, v9
	v_add_nc_u32_e32 v9, 0xfffffc10, v9
	s_wait_alu 0xfffd
	v_cndmask_b32_e64 v4, 0, 1, vcc_lo
	v_cmp_ne_u32_e32 vcc_lo, 0, v11
	s_delay_alu instid0(VALU_DEP_2) | instskip(SKIP_4) | instid1(VALU_DEP_3)
	v_and_or_b32 v4, 0xffe, v7, v4
	s_wait_alu 0xfffd
	v_cndmask_b32_e64 v11, 0, 1, vcc_lo
	v_sub_nc_u32_e32 v7, 0x3f1, v14
	v_add_nc_u32_e32 v14, 0xfffffc10, v14
	v_and_or_b32 v11, 0xffe, v13, v11
	v_med3_i32 v13, v15, 0, 13
	v_or_b32_e32 v15, 0x1000, v4
	v_med3_i32 v7, v7, 0, 13
	s_delay_alu instid0(VALU_DEP_4) | instskip(NEXT) | instid1(VALU_DEP_3)
	v_or_b32_e32 v16, 0x1000, v11
	v_lshrrev_b32_e32 v17, v13, v15
	s_delay_alu instid0(VALU_DEP_2) | instskip(NEXT) | instid1(VALU_DEP_2)
	v_lshrrev_b32_e32 v18, v7, v16
	v_lshlrev_b32_e32 v13, v13, v17
	s_delay_alu instid0(VALU_DEP_2) | instskip(NEXT) | instid1(VALU_DEP_2)
	v_lshlrev_b32_e32 v7, v7, v18
	v_cmp_ne_u32_e32 vcc_lo, v13, v15
	v_lshl_or_b32 v15, v9, 12, v4
	s_wait_alu 0xfffd
	v_cndmask_b32_e64 v13, 0, 1, vcc_lo
	v_cmp_ne_u32_e32 vcc_lo, v7, v16
	v_lshl_or_b32 v16, v14, 12, v11
	s_delay_alu instid0(VALU_DEP_3) | instskip(SKIP_3) | instid1(VALU_DEP_2)
	v_or_b32_e32 v13, v17, v13
	s_wait_alu 0xfffd
	v_cndmask_b32_e64 v7, 0, 1, vcc_lo
	v_cmp_gt_i32_e32 vcc_lo, 1, v9
	v_or_b32_e32 v7, v18, v7
	s_wait_alu 0xfffd
	v_cndmask_b32_e32 v13, v15, v13, vcc_lo
	v_cmp_gt_i32_e32 vcc_lo, 1, v14
	s_delay_alu instid0(VALU_DEP_2)
	v_and_b32_e32 v15, 7, v13
	s_wait_alu 0xfffd
	v_cndmask_b32_e32 v7, v16, v7, vcc_lo
	v_cmp_ne_u32_e32 vcc_lo, 0, v4
	v_lshrrev_b32_e32 v13, 2, v13
	v_cmp_eq_u32_e64 s0, 3, v15
	s_delay_alu instid0(VALU_DEP_4)
	v_and_b32_e32 v16, 7, v7
	s_wait_alu 0xfffd
	v_cndmask_b32_e64 v4, 0, 1, vcc_lo
	v_cmp_ne_u32_e32 vcc_lo, 0, v11
	v_lshrrev_b32_e32 v7, 2, v7
	v_cmp_lt_i32_e64 s1, 5, v16
	v_cmp_eq_u32_e64 s2, 3, v16
	s_wait_alu 0xfffd
	v_cndmask_b32_e64 v11, 0, 1, vcc_lo
	v_cmp_lt_i32_e32 vcc_lo, 5, v15
	v_lshl_or_b32 v4, v4, 9, 0x7c00
	s_delay_alu instid0(VALU_DEP_3)
	v_lshl_or_b32 v11, v11, 9, 0x7c00
	s_or_b32 vcc_lo, s0, vcc_lo
	s_wait_alu 0xfffe
	v_add_co_ci_u32_e32 v13, vcc_lo, 0, v13, vcc_lo
	s_or_b32 vcc_lo, s2, s1
	s_wait_alu 0xfffe
	v_add_co_ci_u32_e32 v7, vcc_lo, 0, v7, vcc_lo
	v_cmp_gt_i32_e32 vcc_lo, 31, v9
	s_wait_alu 0xfffd
	v_cndmask_b32_e32 v13, 0x7c00, v13, vcc_lo
	v_cmp_gt_i32_e32 vcc_lo, 31, v14
	s_wait_alu 0xfffd
	v_cndmask_b32_e32 v7, 0x7c00, v7, vcc_lo
	v_cmp_eq_u32_e32 vcc_lo, 0x40f, v9
	v_lshrrev_b32_e32 v9, 16, v12
	s_wait_alu 0xfffd
	v_cndmask_b32_e32 v4, v13, v4, vcc_lo
	v_cmp_eq_u32_e32 vcc_lo, 0x40f, v14
	s_delay_alu instid0(VALU_DEP_2) | instskip(SKIP_2) | instid1(VALU_DEP_1)
	v_and_or_b32 v4, 0x8000, v10, v4
	s_wait_alu 0xfffd
	v_cndmask_b32_e32 v7, v7, v11, vcc_lo
	v_and_or_b32 v7, 0x8000, v9, v7
	s_delay_alu instid0(VALU_DEP_3) | instskip(SKIP_3) | instid1(VALU_DEP_3)
	v_and_b32_e32 v9, 0xffff, v4
	v_add_co_u32 v4, vcc_lo, v5, s6
	s_wait_alu 0xfffd
	v_add_co_ci_u32_e32 v5, vcc_lo, s7, v6, vcc_lo
	v_lshl_or_b32 v6, v7, 16, v9
	v_lshrrev_b32_e32 v7, 16, v8
	global_store_b32 v[4:5], v6, off
	global_load_b32 v6, v39, s[12:13] offset:1760
	s_wait_loadcnt 0x0
	v_lshrrev_b32_e32 v9, 16, v6
	s_delay_alu instid0(VALU_DEP_1) | instskip(SKIP_1) | instid1(VALU_DEP_2)
	v_mul_f16_e32 v10, v7, v9
	v_mul_f16_e32 v9, v8, v9
	v_fmac_f16_e32 v10, v8, v6
	s_delay_alu instid0(VALU_DEP_2) | instskip(NEXT) | instid1(VALU_DEP_2)
	v_fma_f16 v6, v6, v7, -v9
	v_cvt_f32_f16_e32 v7, v10
	s_delay_alu instid0(VALU_DEP_2) | instskip(NEXT) | instid1(VALU_DEP_2)
	v_cvt_f32_f16_e32 v8, v6
	v_cvt_f64_f32_e32 v[6:7], v7
	s_delay_alu instid0(VALU_DEP_2) | instskip(NEXT) | instid1(VALU_DEP_2)
	v_cvt_f64_f32_e32 v[8:9], v8
	v_mul_f64_e32 v[6:7], s[8:9], v[6:7]
	s_delay_alu instid0(VALU_DEP_2) | instskip(NEXT) | instid1(VALU_DEP_2)
	v_mul_f64_e32 v[8:9], s[8:9], v[8:9]
	v_and_or_b32 v6, 0x1ff, v7, v6
	s_delay_alu instid0(VALU_DEP_2)
	v_and_or_b32 v8, 0x1ff, v9, v8
	v_lshrrev_b32_e32 v10, 8, v7
	v_bfe_u32 v11, v7, 20, 11
	v_lshrrev_b32_e32 v12, 8, v9
	v_cmp_ne_u32_e32 vcc_lo, 0, v6
	v_bfe_u32 v13, v9, 20, 11
	v_lshrrev_b32_e32 v7, 16, v7
	v_sub_nc_u32_e32 v14, 0x3f1, v11
	v_add_nc_u32_e32 v11, 0xfffffc10, v11
	s_wait_alu 0xfffd
	v_cndmask_b32_e64 v6, 0, 1, vcc_lo
	v_cmp_ne_u32_e32 vcc_lo, 0, v8
	v_lshrrev_b32_e32 v9, 16, v9
	s_delay_alu instid0(VALU_DEP_3) | instskip(SKIP_3) | instid1(VALU_DEP_2)
	v_and_or_b32 v6, 0xffe, v10, v6
	s_wait_alu 0xfffd
	v_cndmask_b32_e64 v8, 0, 1, vcc_lo
	v_sub_nc_u32_e32 v10, 0x3f1, v13
	v_and_or_b32 v8, 0xffe, v12, v8
	v_med3_i32 v12, v14, 0, 13
	v_or_b32_e32 v14, 0x1000, v6
	s_delay_alu instid0(VALU_DEP_4) | instskip(NEXT) | instid1(VALU_DEP_4)
	v_med3_i32 v10, v10, 0, 13
	v_or_b32_e32 v15, 0x1000, v8
	s_delay_alu instid0(VALU_DEP_3) | instskip(NEXT) | instid1(VALU_DEP_2)
	v_lshrrev_b32_e32 v16, v12, v14
	v_lshrrev_b32_e32 v17, v10, v15
	s_delay_alu instid0(VALU_DEP_2) | instskip(NEXT) | instid1(VALU_DEP_2)
	v_lshlrev_b32_e32 v12, v12, v16
	v_lshlrev_b32_e32 v10, v10, v17
	s_delay_alu instid0(VALU_DEP_2) | instskip(SKIP_4) | instid1(VALU_DEP_2)
	v_cmp_ne_u32_e32 vcc_lo, v12, v14
	v_lshl_or_b32 v14, v11, 12, v6
	s_wait_alu 0xfffd
	v_cndmask_b32_e64 v12, 0, 1, vcc_lo
	v_cmp_ne_u32_e32 vcc_lo, v10, v15
	v_or_b32_e32 v12, v16, v12
	s_wait_alu 0xfffd
	v_cndmask_b32_e64 v10, 0, 1, vcc_lo
	v_cmp_gt_i32_e32 vcc_lo, 1, v11
	v_add_nc_u32_e32 v13, 0xfffffc10, v13
	s_delay_alu instid0(VALU_DEP_3) | instskip(SKIP_2) | instid1(VALU_DEP_3)
	v_or_b32_e32 v10, v17, v10
	s_wait_alu 0xfffd
	v_cndmask_b32_e32 v12, v14, v12, vcc_lo
	v_lshl_or_b32 v15, v13, 12, v8
	v_cmp_gt_i32_e32 vcc_lo, 1, v13
	s_delay_alu instid0(VALU_DEP_3)
	v_and_b32_e32 v14, 7, v12
	v_lshrrev_b32_e32 v12, 2, v12
	s_wait_alu 0xfffd
	v_cndmask_b32_e32 v10, v15, v10, vcc_lo
	v_cmp_ne_u32_e32 vcc_lo, 0, v6
	v_cmp_eq_u32_e64 s0, 3, v14
	s_wait_alu 0xfffd
	v_cndmask_b32_e64 v6, 0, 1, vcc_lo
	v_cmp_ne_u32_e32 vcc_lo, 0, v8
	s_delay_alu instid0(VALU_DEP_2) | instskip(SKIP_3) | instid1(VALU_DEP_2)
	v_lshl_or_b32 v6, v6, 9, 0x7c00
	s_wait_alu 0xfffd
	v_cndmask_b32_e64 v8, 0, 1, vcc_lo
	v_cmp_lt_i32_e32 vcc_lo, 5, v14
	v_lshl_or_b32 v8, v8, 9, 0x7c00
	s_or_b32 vcc_lo, s0, vcc_lo
	s_wait_alu 0xfffe
	v_add_co_ci_u32_e32 v12, vcc_lo, 0, v12, vcc_lo
	v_and_b32_e32 v15, 7, v10
	v_lshrrev_b32_e32 v10, 2, v10
	s_delay_alu instid0(VALU_DEP_2) | instskip(SKIP_1) | instid1(VALU_DEP_1)
	v_cmp_lt_i32_e64 s1, 5, v15
	v_cmp_eq_u32_e64 s2, 3, v15
	s_or_b32 vcc_lo, s2, s1
	s_wait_alu 0xfffe
	v_add_co_ci_u32_e32 v10, vcc_lo, 0, v10, vcc_lo
	v_cmp_gt_i32_e32 vcc_lo, 31, v11
	s_wait_alu 0xfffd
	v_cndmask_b32_e32 v12, 0x7c00, v12, vcc_lo
	v_cmp_gt_i32_e32 vcc_lo, 31, v13
	s_wait_alu 0xfffd
	v_cndmask_b32_e32 v10, 0x7c00, v10, vcc_lo
	v_cmp_eq_u32_e32 vcc_lo, 0x40f, v11
	s_wait_alu 0xfffd
	v_cndmask_b32_e32 v6, v12, v6, vcc_lo
	v_cmp_eq_u32_e32 vcc_lo, 0x40f, v13
	s_delay_alu instid0(VALU_DEP_2)
	v_and_or_b32 v6, 0x8000, v7, v6
	s_wait_alu 0xfffd
	v_cndmask_b32_e32 v8, v10, v8, vcc_lo
	v_add_co_u32 v4, vcc_lo, v4, s6
	s_wait_alu 0xfffd
	v_add_co_ci_u32_e32 v5, vcc_lo, s7, v5, vcc_lo
	s_delay_alu instid0(VALU_DEP_3) | instskip(SKIP_1) | instid1(VALU_DEP_1)
	v_and_or_b32 v7, 0x8000, v9, v8
	v_and_b32_e32 v6, 0xffff, v6
	v_lshl_or_b32 v6, v7, 16, v6
	global_store_b32 v[4:5], v6, off
	global_load_b32 v8, v39, s[12:13] offset:1936
	ds_load_2addr_b32 v[6:7], v3 offset0:100 offset1:144
	s_wait_dscnt 0x0
	v_lshrrev_b32_e32 v3, 16, v6
	s_wait_loadcnt 0x0
	v_lshrrev_b32_e32 v9, 16, v8
	s_delay_alu instid0(VALU_DEP_1) | instskip(SKIP_1) | instid1(VALU_DEP_2)
	v_mul_f16_e32 v10, v3, v9
	v_mul_f16_e32 v9, v6, v9
	v_fmac_f16_e32 v10, v6, v8
	s_delay_alu instid0(VALU_DEP_2) | instskip(NEXT) | instid1(VALU_DEP_2)
	v_fma_f16 v3, v8, v3, -v9
	v_cvt_f32_f16_e32 v6, v10
	s_delay_alu instid0(VALU_DEP_2) | instskip(NEXT) | instid1(VALU_DEP_2)
	v_cvt_f32_f16_e32 v3, v3
	v_cvt_f64_f32_e32 v[8:9], v6
	s_delay_alu instid0(VALU_DEP_2) | instskip(NEXT) | instid1(VALU_DEP_2)
	v_cvt_f64_f32_e32 v[10:11], v3
	v_mul_f64_e32 v[8:9], s[8:9], v[8:9]
	s_delay_alu instid0(VALU_DEP_2) | instskip(NEXT) | instid1(VALU_DEP_2)
	v_mul_f64_e32 v[10:11], s[8:9], v[10:11]
	v_and_or_b32 v3, 0x1ff, v9, v8
	s_delay_alu instid0(VALU_DEP_2)
	v_and_or_b32 v10, 0x1ff, v11, v10
	v_lshrrev_b32_e32 v6, 8, v9
	v_bfe_u32 v8, v9, 20, 11
	v_lshrrev_b32_e32 v12, 8, v11
	v_cmp_ne_u32_e32 vcc_lo, 0, v3
	v_bfe_u32 v13, v11, 20, 11
	v_lshrrev_b32_e32 v9, 16, v9
	v_sub_nc_u32_e32 v14, 0x3f1, v8
	v_add_nc_u32_e32 v8, 0xfffffc10, v8
	s_wait_alu 0xfffd
	v_cndmask_b32_e64 v3, 0, 1, vcc_lo
	v_cmp_ne_u32_e32 vcc_lo, 0, v10
	s_delay_alu instid0(VALU_DEP_2) | instskip(SKIP_4) | instid1(VALU_DEP_3)
	v_and_or_b32 v3, 0xffe, v6, v3
	s_wait_alu 0xfffd
	v_cndmask_b32_e64 v10, 0, 1, vcc_lo
	v_sub_nc_u32_e32 v6, 0x3f1, v13
	v_add_nc_u32_e32 v13, 0xfffffc10, v13
	v_and_or_b32 v10, 0xffe, v12, v10
	v_med3_i32 v12, v14, 0, 13
	v_or_b32_e32 v14, 0x1000, v3
	v_med3_i32 v6, v6, 0, 13
	s_delay_alu instid0(VALU_DEP_4) | instskip(NEXT) | instid1(VALU_DEP_3)
	v_or_b32_e32 v15, 0x1000, v10
	v_lshrrev_b32_e32 v16, v12, v14
	s_delay_alu instid0(VALU_DEP_2) | instskip(NEXT) | instid1(VALU_DEP_2)
	v_lshrrev_b32_e32 v17, v6, v15
	v_lshlrev_b32_e32 v12, v12, v16
	s_delay_alu instid0(VALU_DEP_2) | instskip(NEXT) | instid1(VALU_DEP_2)
	v_lshlrev_b32_e32 v6, v6, v17
	v_cmp_ne_u32_e32 vcc_lo, v12, v14
	v_lshl_or_b32 v14, v8, 12, v3
	s_wait_alu 0xfffd
	v_cndmask_b32_e64 v12, 0, 1, vcc_lo
	v_cmp_ne_u32_e32 vcc_lo, v6, v15
	v_lshl_or_b32 v15, v13, 12, v10
	s_delay_alu instid0(VALU_DEP_3) | instskip(SKIP_3) | instid1(VALU_DEP_2)
	v_or_b32_e32 v12, v16, v12
	s_wait_alu 0xfffd
	v_cndmask_b32_e64 v6, 0, 1, vcc_lo
	v_cmp_gt_i32_e32 vcc_lo, 1, v8
	v_or_b32_e32 v6, v17, v6
	s_wait_alu 0xfffd
	v_cndmask_b32_e32 v12, v14, v12, vcc_lo
	v_cmp_gt_i32_e32 vcc_lo, 1, v13
	s_delay_alu instid0(VALU_DEP_2)
	v_and_b32_e32 v14, 7, v12
	s_wait_alu 0xfffd
	v_cndmask_b32_e32 v6, v15, v6, vcc_lo
	v_cmp_ne_u32_e32 vcc_lo, 0, v3
	v_lshrrev_b32_e32 v12, 2, v12
	v_cmp_eq_u32_e64 s0, 3, v14
	s_delay_alu instid0(VALU_DEP_4)
	v_and_b32_e32 v15, 7, v6
	s_wait_alu 0xfffd
	v_cndmask_b32_e64 v3, 0, 1, vcc_lo
	v_cmp_ne_u32_e32 vcc_lo, 0, v10
	v_lshrrev_b32_e32 v6, 2, v6
	v_cmp_lt_i32_e64 s1, 5, v15
	v_cmp_eq_u32_e64 s2, 3, v15
	s_wait_alu 0xfffd
	v_cndmask_b32_e64 v10, 0, 1, vcc_lo
	v_cmp_lt_i32_e32 vcc_lo, 5, v14
	v_lshl_or_b32 v3, v3, 9, 0x7c00
	s_delay_alu instid0(VALU_DEP_3)
	v_lshl_or_b32 v10, v10, 9, 0x7c00
	s_or_b32 vcc_lo, s0, vcc_lo
	s_wait_alu 0xfffe
	v_add_co_ci_u32_e32 v12, vcc_lo, 0, v12, vcc_lo
	s_or_b32 vcc_lo, s2, s1
	s_wait_alu 0xfffe
	v_add_co_ci_u32_e32 v6, vcc_lo, 0, v6, vcc_lo
	v_cmp_gt_i32_e32 vcc_lo, 31, v8
	s_wait_alu 0xfffd
	v_cndmask_b32_e32 v12, 0x7c00, v12, vcc_lo
	v_cmp_gt_i32_e32 vcc_lo, 31, v13
	s_wait_alu 0xfffd
	v_cndmask_b32_e32 v6, 0x7c00, v6, vcc_lo
	v_cmp_eq_u32_e32 vcc_lo, 0x40f, v8
	v_lshrrev_b32_e32 v8, 16, v11
	s_wait_alu 0xfffd
	v_cndmask_b32_e32 v3, v12, v3, vcc_lo
	v_cmp_eq_u32_e32 vcc_lo, 0x40f, v13
	s_delay_alu instid0(VALU_DEP_2) | instskip(SKIP_2) | instid1(VALU_DEP_1)
	v_and_or_b32 v3, 0x8000, v9, v3
	s_wait_alu 0xfffd
	v_cndmask_b32_e32 v6, v6, v10, vcc_lo
	v_and_or_b32 v6, 0x8000, v8, v6
	s_delay_alu instid0(VALU_DEP_3) | instskip(SKIP_3) | instid1(VALU_DEP_3)
	v_and_b32_e32 v8, 0xffff, v3
	v_add_co_u32 v3, vcc_lo, v4, s6
	s_wait_alu 0xfffd
	v_add_co_ci_u32_e32 v4, vcc_lo, s7, v5, vcc_lo
	v_lshl_or_b32 v5, v6, 16, v8
	v_lshrrev_b32_e32 v6, 16, v7
	global_store_b32 v[3:4], v5, off
	global_load_b32 v5, v39, s[12:13] offset:2112
	s_wait_loadcnt 0x0
	v_lshrrev_b32_e32 v8, 16, v5
	s_delay_alu instid0(VALU_DEP_1) | instskip(SKIP_1) | instid1(VALU_DEP_2)
	v_mul_f16_e32 v9, v6, v8
	v_mul_f16_e32 v8, v7, v8
	v_fmac_f16_e32 v9, v7, v5
	s_delay_alu instid0(VALU_DEP_2) | instskip(NEXT) | instid1(VALU_DEP_2)
	v_fma_f16 v5, v5, v6, -v8
	v_cvt_f32_f16_e32 v6, v9
	s_delay_alu instid0(VALU_DEP_2) | instskip(NEXT) | instid1(VALU_DEP_2)
	v_cvt_f32_f16_e32 v7, v5
	v_cvt_f64_f32_e32 v[5:6], v6
	s_delay_alu instid0(VALU_DEP_2) | instskip(NEXT) | instid1(VALU_DEP_2)
	v_cvt_f64_f32_e32 v[7:8], v7
	v_mul_f64_e32 v[5:6], s[8:9], v[5:6]
	s_delay_alu instid0(VALU_DEP_2) | instskip(NEXT) | instid1(VALU_DEP_2)
	v_mul_f64_e32 v[7:8], s[8:9], v[7:8]
	v_and_or_b32 v5, 0x1ff, v6, v5
	s_delay_alu instid0(VALU_DEP_2)
	v_and_or_b32 v7, 0x1ff, v8, v7
	v_lshrrev_b32_e32 v9, 8, v6
	v_bfe_u32 v10, v6, 20, 11
	v_lshrrev_b32_e32 v11, 8, v8
	v_cmp_ne_u32_e32 vcc_lo, 0, v5
	v_bfe_u32 v12, v8, 20, 11
	v_lshrrev_b32_e32 v6, 16, v6
	v_sub_nc_u32_e32 v13, 0x3f1, v10
	v_add_nc_u32_e32 v10, 0xfffffc10, v10
	s_wait_alu 0xfffd
	v_cndmask_b32_e64 v5, 0, 1, vcc_lo
	v_cmp_ne_u32_e32 vcc_lo, 0, v7
	v_lshrrev_b32_e32 v8, 16, v8
	s_delay_alu instid0(VALU_DEP_3) | instskip(SKIP_4) | instid1(VALU_DEP_3)
	v_and_or_b32 v5, 0xffe, v9, v5
	s_wait_alu 0xfffd
	v_cndmask_b32_e64 v7, 0, 1, vcc_lo
	v_sub_nc_u32_e32 v9, 0x3f1, v12
	v_add_nc_u32_e32 v12, 0xfffffc10, v12
	v_and_or_b32 v7, 0xffe, v11, v7
	v_med3_i32 v11, v13, 0, 13
	v_or_b32_e32 v13, 0x1000, v5
	v_med3_i32 v9, v9, 0, 13
	s_delay_alu instid0(VALU_DEP_4) | instskip(NEXT) | instid1(VALU_DEP_3)
	v_or_b32_e32 v14, 0x1000, v7
	v_lshrrev_b32_e32 v15, v11, v13
	s_delay_alu instid0(VALU_DEP_2) | instskip(NEXT) | instid1(VALU_DEP_2)
	v_lshrrev_b32_e32 v16, v9, v14
	v_lshlrev_b32_e32 v11, v11, v15
	s_delay_alu instid0(VALU_DEP_2) | instskip(NEXT) | instid1(VALU_DEP_2)
	v_lshlrev_b32_e32 v9, v9, v16
	v_cmp_ne_u32_e32 vcc_lo, v11, v13
	v_lshl_or_b32 v13, v10, 12, v5
	s_wait_alu 0xfffd
	v_cndmask_b32_e64 v11, 0, 1, vcc_lo
	v_cmp_ne_u32_e32 vcc_lo, v9, v14
	v_lshl_or_b32 v14, v12, 12, v7
	s_delay_alu instid0(VALU_DEP_3) | instskip(SKIP_3) | instid1(VALU_DEP_2)
	v_or_b32_e32 v11, v15, v11
	s_wait_alu 0xfffd
	v_cndmask_b32_e64 v9, 0, 1, vcc_lo
	v_cmp_gt_i32_e32 vcc_lo, 1, v10
	v_or_b32_e32 v9, v16, v9
	s_wait_alu 0xfffd
	v_cndmask_b32_e32 v11, v13, v11, vcc_lo
	v_cmp_gt_i32_e32 vcc_lo, 1, v12
	s_delay_alu instid0(VALU_DEP_2)
	v_and_b32_e32 v13, 7, v11
	s_wait_alu 0xfffd
	v_cndmask_b32_e32 v9, v14, v9, vcc_lo
	v_cmp_ne_u32_e32 vcc_lo, 0, v5
	v_lshrrev_b32_e32 v11, 2, v11
	v_cmp_eq_u32_e64 s0, 3, v13
	s_delay_alu instid0(VALU_DEP_4)
	v_and_b32_e32 v14, 7, v9
	s_wait_alu 0xfffd
	v_cndmask_b32_e64 v5, 0, 1, vcc_lo
	v_cmp_ne_u32_e32 vcc_lo, 0, v7
	v_lshrrev_b32_e32 v9, 2, v9
	v_cmp_lt_i32_e64 s1, 5, v14
	v_cmp_eq_u32_e64 s2, 3, v14
	s_wait_alu 0xfffd
	v_cndmask_b32_e64 v7, 0, 1, vcc_lo
	v_cmp_lt_i32_e32 vcc_lo, 5, v13
	v_lshl_or_b32 v5, v5, 9, 0x7c00
	s_delay_alu instid0(VALU_DEP_3)
	v_lshl_or_b32 v7, v7, 9, 0x7c00
	s_or_b32 vcc_lo, s0, vcc_lo
	s_wait_alu 0xfffe
	v_add_co_ci_u32_e32 v11, vcc_lo, 0, v11, vcc_lo
	s_or_b32 vcc_lo, s2, s1
	s_wait_alu 0xfffe
	v_add_co_ci_u32_e32 v9, vcc_lo, 0, v9, vcc_lo
	v_cmp_gt_i32_e32 vcc_lo, 31, v10
	s_wait_alu 0xfffd
	v_cndmask_b32_e32 v11, 0x7c00, v11, vcc_lo
	v_cmp_gt_i32_e32 vcc_lo, 31, v12
	s_wait_alu 0xfffd
	v_cndmask_b32_e32 v9, 0x7c00, v9, vcc_lo
	v_cmp_eq_u32_e32 vcc_lo, 0x40f, v10
	s_wait_alu 0xfffd
	v_cndmask_b32_e32 v5, v11, v5, vcc_lo
	v_cmp_eq_u32_e32 vcc_lo, 0x40f, v12
	s_delay_alu instid0(VALU_DEP_2)
	v_and_or_b32 v5, 0x8000, v6, v5
	s_wait_alu 0xfffd
	v_cndmask_b32_e32 v7, v9, v7, vcc_lo
	v_add_co_u32 v3, vcc_lo, v3, s6
	s_wait_alu 0xfffd
	v_add_co_ci_u32_e32 v4, vcc_lo, s7, v4, vcc_lo
	s_delay_alu instid0(VALU_DEP_3) | instskip(SKIP_1) | instid1(VALU_DEP_1)
	v_and_or_b32 v6, 0x8000, v8, v7
	v_and_b32_e32 v5, 0xffff, v5
	v_lshl_or_b32 v5, v6, 16, v5
	global_store_b32 v[3:4], v5, off
	global_load_b32 v7, v39, s[12:13] offset:2288
	ds_load_2addr_b32 v[5:6], v2 offset0:60 offset1:104
	s_wait_dscnt 0x0
	v_lshrrev_b32_e32 v8, 16, v5
	s_wait_loadcnt 0x0
	v_lshrrev_b32_e32 v9, 16, v7
	s_delay_alu instid0(VALU_DEP_1) | instskip(SKIP_1) | instid1(VALU_DEP_2)
	v_mul_f16_e32 v10, v8, v9
	v_mul_f16_e32 v9, v5, v9
	v_fmac_f16_e32 v10, v5, v7
	s_delay_alu instid0(VALU_DEP_2) | instskip(NEXT) | instid1(VALU_DEP_2)
	v_fma_f16 v5, v7, v8, -v9
	v_cvt_f32_f16_e32 v7, v10
	s_delay_alu instid0(VALU_DEP_2) | instskip(NEXT) | instid1(VALU_DEP_2)
	v_cvt_f32_f16_e32 v5, v5
	v_cvt_f64_f32_e32 v[7:8], v7
	s_delay_alu instid0(VALU_DEP_2) | instskip(NEXT) | instid1(VALU_DEP_2)
	v_cvt_f64_f32_e32 v[9:10], v5
	v_mul_f64_e32 v[7:8], s[8:9], v[7:8]
	s_delay_alu instid0(VALU_DEP_2) | instskip(NEXT) | instid1(VALU_DEP_2)
	v_mul_f64_e32 v[9:10], s[8:9], v[9:10]
	v_and_or_b32 v5, 0x1ff, v8, v7
	s_delay_alu instid0(VALU_DEP_2)
	v_and_or_b32 v9, 0x1ff, v10, v9
	v_lshrrev_b32_e32 v7, 8, v8
	v_bfe_u32 v11, v8, 20, 11
	v_lshrrev_b32_e32 v12, 8, v10
	v_cmp_ne_u32_e32 vcc_lo, 0, v5
	v_bfe_u32 v13, v10, 20, 11
	v_lshrrev_b32_e32 v8, 16, v8
	v_sub_nc_u32_e32 v14, 0x3f1, v11
	v_lshrrev_b32_e32 v10, 16, v10
	s_wait_alu 0xfffd
	v_cndmask_b32_e64 v5, 0, 1, vcc_lo
	v_cmp_ne_u32_e32 vcc_lo, 0, v9
	s_delay_alu instid0(VALU_DEP_2) | instskip(SKIP_4) | instid1(VALU_DEP_3)
	v_and_or_b32 v5, 0xffe, v7, v5
	s_wait_alu 0xfffd
	v_cndmask_b32_e64 v9, 0, 1, vcc_lo
	v_sub_nc_u32_e32 v7, 0x3f1, v13
	v_add_nc_u32_e32 v13, 0xfffffc10, v13
	v_and_or_b32 v9, 0xffe, v12, v9
	v_med3_i32 v12, v14, 0, 13
	v_or_b32_e32 v14, 0x1000, v5
	v_med3_i32 v7, v7, 0, 13
	s_delay_alu instid0(VALU_DEP_4) | instskip(NEXT) | instid1(VALU_DEP_3)
	v_or_b32_e32 v15, 0x1000, v9
	v_lshrrev_b32_e32 v16, v12, v14
	s_delay_alu instid0(VALU_DEP_2) | instskip(NEXT) | instid1(VALU_DEP_2)
	v_lshrrev_b32_e32 v17, v7, v15
	v_lshlrev_b32_e32 v12, v12, v16
	s_delay_alu instid0(VALU_DEP_2) | instskip(NEXT) | instid1(VALU_DEP_2)
	v_lshlrev_b32_e32 v7, v7, v17
	v_cmp_ne_u32_e32 vcc_lo, v12, v14
	s_wait_alu 0xfffd
	v_cndmask_b32_e64 v12, 0, 1, vcc_lo
	s_delay_alu instid0(VALU_DEP_3) | instskip(SKIP_1) | instid1(VALU_DEP_3)
	v_cmp_ne_u32_e32 vcc_lo, v7, v15
	v_lshl_or_b32 v15, v13, 12, v9
	v_or_b32_e32 v12, v16, v12
	v_add_nc_u32_e32 v11, 0xfffffc10, v11
	s_wait_alu 0xfffd
	v_cndmask_b32_e64 v7, 0, 1, vcc_lo
	s_delay_alu instid0(VALU_DEP_2) | instskip(SKIP_1) | instid1(VALU_DEP_3)
	v_lshl_or_b32 v14, v11, 12, v5
	v_cmp_gt_i32_e32 vcc_lo, 1, v11
	v_or_b32_e32 v7, v17, v7
	s_wait_alu 0xfffd
	s_delay_alu instid0(VALU_DEP_3) | instskip(SKIP_2) | instid1(VALU_DEP_2)
	v_cndmask_b32_e32 v12, v14, v12, vcc_lo
	v_cmp_gt_i32_e32 vcc_lo, 1, v13
	s_wait_alu 0xfffd
	v_dual_cndmask_b32 v7, v15, v7 :: v_dual_and_b32 v14, 7, v12
	v_cmp_ne_u32_e32 vcc_lo, 0, v5
	v_lshrrev_b32_e32 v12, 2, v12
	s_delay_alu instid0(VALU_DEP_3) | instskip(NEXT) | instid1(VALU_DEP_4)
	v_cmp_eq_u32_e64 s0, 3, v14
	v_and_b32_e32 v15, 7, v7
	s_wait_alu 0xfffd
	v_cndmask_b32_e64 v5, 0, 1, vcc_lo
	v_cmp_ne_u32_e32 vcc_lo, 0, v9
	v_lshrrev_b32_e32 v7, 2, v7
	v_cmp_lt_i32_e64 s1, 5, v15
	v_cmp_eq_u32_e64 s2, 3, v15
	s_wait_alu 0xfffd
	v_cndmask_b32_e64 v9, 0, 1, vcc_lo
	v_cmp_lt_i32_e32 vcc_lo, 5, v14
	v_lshl_or_b32 v5, v5, 9, 0x7c00
	s_delay_alu instid0(VALU_DEP_3)
	v_lshl_or_b32 v9, v9, 9, 0x7c00
	s_or_b32 vcc_lo, s0, vcc_lo
	s_wait_alu 0xfffe
	v_add_co_ci_u32_e32 v12, vcc_lo, 0, v12, vcc_lo
	s_or_b32 vcc_lo, s2, s1
	s_wait_alu 0xfffe
	v_add_co_ci_u32_e32 v7, vcc_lo, 0, v7, vcc_lo
	v_cmp_gt_i32_e32 vcc_lo, 31, v11
	s_wait_alu 0xfffd
	v_cndmask_b32_e32 v12, 0x7c00, v12, vcc_lo
	v_cmp_gt_i32_e32 vcc_lo, 31, v13
	s_wait_alu 0xfffd
	v_cndmask_b32_e32 v7, 0x7c00, v7, vcc_lo
	v_cmp_eq_u32_e32 vcc_lo, 0x40f, v11
	s_wait_alu 0xfffd
	v_cndmask_b32_e32 v5, v12, v5, vcc_lo
	v_cmp_eq_u32_e32 vcc_lo, 0x40f, v13
	s_delay_alu instid0(VALU_DEP_2)
	v_and_or_b32 v5, 0x8000, v8, v5
	s_wait_alu 0xfffd
	v_cndmask_b32_e32 v7, v7, v9, vcc_lo
	v_add_co_u32 v3, vcc_lo, v3, s6
	s_wait_alu 0xfffd
	v_add_co_ci_u32_e32 v4, vcc_lo, s7, v4, vcc_lo
	s_delay_alu instid0(VALU_DEP_3) | instskip(SKIP_1) | instid1(VALU_DEP_1)
	v_and_or_b32 v7, 0x8000, v10, v7
	v_and_b32_e32 v5, 0xffff, v5
	v_lshl_or_b32 v5, v7, 16, v5
	v_lshrrev_b32_e32 v7, 16, v6
	global_store_b32 v[3:4], v5, off
	global_load_b32 v5, v39, s[12:13] offset:2464
	s_wait_loadcnt 0x0
	v_lshrrev_b32_e32 v8, 16, v5
	s_delay_alu instid0(VALU_DEP_1) | instskip(SKIP_1) | instid1(VALU_DEP_2)
	v_mul_f16_e32 v9, v7, v8
	v_mul_f16_e32 v8, v6, v8
	v_fmac_f16_e32 v9, v6, v5
	s_delay_alu instid0(VALU_DEP_2) | instskip(NEXT) | instid1(VALU_DEP_2)
	v_fma_f16 v5, v5, v7, -v8
	v_cvt_f32_f16_e32 v6, v9
	s_delay_alu instid0(VALU_DEP_2) | instskip(NEXT) | instid1(VALU_DEP_2)
	v_cvt_f32_f16_e32 v7, v5
	v_cvt_f64_f32_e32 v[5:6], v6
	s_delay_alu instid0(VALU_DEP_2) | instskip(NEXT) | instid1(VALU_DEP_2)
	v_cvt_f64_f32_e32 v[7:8], v7
	v_mul_f64_e32 v[5:6], s[8:9], v[5:6]
	s_delay_alu instid0(VALU_DEP_2) | instskip(NEXT) | instid1(VALU_DEP_2)
	v_mul_f64_e32 v[7:8], s[8:9], v[7:8]
	v_and_or_b32 v5, 0x1ff, v6, v5
	s_delay_alu instid0(VALU_DEP_2)
	v_and_or_b32 v7, 0x1ff, v8, v7
	v_lshrrev_b32_e32 v9, 8, v6
	v_bfe_u32 v10, v6, 20, 11
	v_lshrrev_b32_e32 v11, 8, v8
	v_cmp_ne_u32_e32 vcc_lo, 0, v5
	v_bfe_u32 v12, v8, 20, 11
	v_lshrrev_b32_e32 v6, 16, v6
	v_sub_nc_u32_e32 v13, 0x3f1, v10
	v_add_nc_u32_e32 v10, 0xfffffc10, v10
	s_wait_alu 0xfffd
	v_cndmask_b32_e64 v5, 0, 1, vcc_lo
	v_cmp_ne_u32_e32 vcc_lo, 0, v7
	v_lshrrev_b32_e32 v8, 16, v8
	s_delay_alu instid0(VALU_DEP_3) | instskip(SKIP_4) | instid1(VALU_DEP_3)
	v_and_or_b32 v5, 0xffe, v9, v5
	s_wait_alu 0xfffd
	v_cndmask_b32_e64 v7, 0, 1, vcc_lo
	v_sub_nc_u32_e32 v9, 0x3f1, v12
	v_add_nc_u32_e32 v12, 0xfffffc10, v12
	v_and_or_b32 v7, 0xffe, v11, v7
	v_med3_i32 v11, v13, 0, 13
	v_or_b32_e32 v13, 0x1000, v5
	v_med3_i32 v9, v9, 0, 13
	s_delay_alu instid0(VALU_DEP_4) | instskip(NEXT) | instid1(VALU_DEP_3)
	v_or_b32_e32 v14, 0x1000, v7
	v_lshrrev_b32_e32 v15, v11, v13
	s_delay_alu instid0(VALU_DEP_2) | instskip(NEXT) | instid1(VALU_DEP_2)
	v_lshrrev_b32_e32 v16, v9, v14
	v_lshlrev_b32_e32 v11, v11, v15
	s_delay_alu instid0(VALU_DEP_2) | instskip(NEXT) | instid1(VALU_DEP_2)
	v_lshlrev_b32_e32 v9, v9, v16
	v_cmp_ne_u32_e32 vcc_lo, v11, v13
	v_lshl_or_b32 v13, v10, 12, v5
	s_wait_alu 0xfffd
	v_cndmask_b32_e64 v11, 0, 1, vcc_lo
	v_cmp_ne_u32_e32 vcc_lo, v9, v14
	v_lshl_or_b32 v14, v12, 12, v7
	s_delay_alu instid0(VALU_DEP_3) | instskip(SKIP_3) | instid1(VALU_DEP_2)
	v_or_b32_e32 v11, v15, v11
	s_wait_alu 0xfffd
	v_cndmask_b32_e64 v9, 0, 1, vcc_lo
	v_cmp_gt_i32_e32 vcc_lo, 1, v10
	v_or_b32_e32 v9, v16, v9
	s_wait_alu 0xfffd
	v_cndmask_b32_e32 v11, v13, v11, vcc_lo
	v_cmp_gt_i32_e32 vcc_lo, 1, v12
	s_delay_alu instid0(VALU_DEP_2)
	v_and_b32_e32 v13, 7, v11
	s_wait_alu 0xfffd
	v_cndmask_b32_e32 v9, v14, v9, vcc_lo
	v_cmp_ne_u32_e32 vcc_lo, 0, v5
	v_lshrrev_b32_e32 v11, 2, v11
	v_cmp_eq_u32_e64 s0, 3, v13
	s_delay_alu instid0(VALU_DEP_4)
	v_and_b32_e32 v14, 7, v9
	s_wait_alu 0xfffd
	v_cndmask_b32_e64 v5, 0, 1, vcc_lo
	v_cmp_ne_u32_e32 vcc_lo, 0, v7
	v_lshrrev_b32_e32 v9, 2, v9
	v_cmp_lt_i32_e64 s1, 5, v14
	v_cmp_eq_u32_e64 s2, 3, v14
	s_wait_alu 0xfffd
	v_cndmask_b32_e64 v7, 0, 1, vcc_lo
	v_cmp_lt_i32_e32 vcc_lo, 5, v13
	v_lshl_or_b32 v5, v5, 9, 0x7c00
	s_delay_alu instid0(VALU_DEP_3)
	v_lshl_or_b32 v7, v7, 9, 0x7c00
	s_or_b32 vcc_lo, s0, vcc_lo
	s_wait_alu 0xfffe
	v_add_co_ci_u32_e32 v11, vcc_lo, 0, v11, vcc_lo
	s_or_b32 vcc_lo, s2, s1
	s_wait_alu 0xfffe
	v_add_co_ci_u32_e32 v9, vcc_lo, 0, v9, vcc_lo
	v_cmp_gt_i32_e32 vcc_lo, 31, v10
	s_wait_alu 0xfffd
	v_cndmask_b32_e32 v11, 0x7c00, v11, vcc_lo
	v_cmp_gt_i32_e32 vcc_lo, 31, v12
	s_wait_alu 0xfffd
	v_cndmask_b32_e32 v9, 0x7c00, v9, vcc_lo
	v_cmp_eq_u32_e32 vcc_lo, 0x40f, v10
	s_wait_alu 0xfffd
	v_cndmask_b32_e32 v5, v11, v5, vcc_lo
	v_cmp_eq_u32_e32 vcc_lo, 0x40f, v12
	s_delay_alu instid0(VALU_DEP_2)
	v_and_or_b32 v5, 0x8000, v6, v5
	s_wait_alu 0xfffd
	v_cndmask_b32_e32 v7, v9, v7, vcc_lo
	v_add_co_u32 v3, vcc_lo, v3, s6
	s_wait_alu 0xfffd
	v_add_co_ci_u32_e32 v4, vcc_lo, s7, v4, vcc_lo
	s_delay_alu instid0(VALU_DEP_3) | instskip(SKIP_1) | instid1(VALU_DEP_1)
	v_and_or_b32 v6, 0x8000, v8, v7
	v_and_b32_e32 v5, 0xffff, v5
	v_lshl_or_b32 v5, v6, 16, v5
	global_store_b32 v[3:4], v5, off
	global_load_b32 v7, v39, s[12:13] offset:2640
	ds_load_2addr_b32 v[5:6], v2 offset0:148 offset1:192
	s_wait_dscnt 0x0
	v_lshrrev_b32_e32 v2, 16, v5
	s_wait_loadcnt 0x0
	v_lshrrev_b32_e32 v8, 16, v7
	s_delay_alu instid0(VALU_DEP_1) | instskip(SKIP_1) | instid1(VALU_DEP_2)
	v_mul_f16_e32 v9, v2, v8
	v_mul_f16_e32 v8, v5, v8
	v_fmac_f16_e32 v9, v5, v7
	s_delay_alu instid0(VALU_DEP_2) | instskip(NEXT) | instid1(VALU_DEP_2)
	v_fma_f16 v2, v7, v2, -v8
	v_cvt_f32_f16_e32 v5, v9
	s_delay_alu instid0(VALU_DEP_2) | instskip(NEXT) | instid1(VALU_DEP_2)
	v_cvt_f32_f16_e32 v2, v2
	v_cvt_f64_f32_e32 v[7:8], v5
	s_delay_alu instid0(VALU_DEP_2) | instskip(NEXT) | instid1(VALU_DEP_2)
	v_cvt_f64_f32_e32 v[9:10], v2
	v_mul_f64_e32 v[7:8], s[8:9], v[7:8]
	s_delay_alu instid0(VALU_DEP_2) | instskip(NEXT) | instid1(VALU_DEP_2)
	v_mul_f64_e32 v[9:10], s[8:9], v[9:10]
	v_and_or_b32 v2, 0x1ff, v8, v7
	s_delay_alu instid0(VALU_DEP_2)
	v_and_or_b32 v9, 0x1ff, v10, v9
	v_lshrrev_b32_e32 v5, 8, v8
	v_bfe_u32 v7, v8, 20, 11
	v_lshrrev_b32_e32 v11, 8, v10
	v_cmp_ne_u32_e32 vcc_lo, 0, v2
	v_bfe_u32 v12, v10, 20, 11
	v_lshrrev_b32_e32 v8, 16, v8
	v_sub_nc_u32_e32 v13, 0x3f1, v7
	v_add_nc_u32_e32 v7, 0xfffffc10, v7
	s_wait_alu 0xfffd
	v_cndmask_b32_e64 v2, 0, 1, vcc_lo
	v_cmp_ne_u32_e32 vcc_lo, 0, v9
	s_delay_alu instid0(VALU_DEP_2) | instskip(SKIP_4) | instid1(VALU_DEP_3)
	v_and_or_b32 v2, 0xffe, v5, v2
	s_wait_alu 0xfffd
	v_cndmask_b32_e64 v9, 0, 1, vcc_lo
	v_sub_nc_u32_e32 v5, 0x3f1, v12
	v_add_nc_u32_e32 v12, 0xfffffc10, v12
	v_and_or_b32 v9, 0xffe, v11, v9
	v_med3_i32 v11, v13, 0, 13
	v_or_b32_e32 v13, 0x1000, v2
	v_med3_i32 v5, v5, 0, 13
	s_delay_alu instid0(VALU_DEP_4) | instskip(NEXT) | instid1(VALU_DEP_3)
	v_or_b32_e32 v14, 0x1000, v9
	v_lshrrev_b32_e32 v15, v11, v13
	s_delay_alu instid0(VALU_DEP_2) | instskip(NEXT) | instid1(VALU_DEP_2)
	v_lshrrev_b32_e32 v16, v5, v14
	v_lshlrev_b32_e32 v11, v11, v15
	s_delay_alu instid0(VALU_DEP_2) | instskip(NEXT) | instid1(VALU_DEP_2)
	v_lshlrev_b32_e32 v5, v5, v16
	v_cmp_ne_u32_e32 vcc_lo, v11, v13
	v_lshl_or_b32 v13, v7, 12, v2
	s_wait_alu 0xfffd
	v_cndmask_b32_e64 v11, 0, 1, vcc_lo
	v_cmp_ne_u32_e32 vcc_lo, v5, v14
	v_lshl_or_b32 v14, v12, 12, v9
	s_delay_alu instid0(VALU_DEP_3) | instskip(SKIP_3) | instid1(VALU_DEP_2)
	v_or_b32_e32 v11, v15, v11
	s_wait_alu 0xfffd
	v_cndmask_b32_e64 v5, 0, 1, vcc_lo
	v_cmp_gt_i32_e32 vcc_lo, 1, v7
	v_or_b32_e32 v5, v16, v5
	s_wait_alu 0xfffd
	v_cndmask_b32_e32 v11, v13, v11, vcc_lo
	v_cmp_gt_i32_e32 vcc_lo, 1, v12
	s_delay_alu instid0(VALU_DEP_2)
	v_and_b32_e32 v13, 7, v11
	s_wait_alu 0xfffd
	v_cndmask_b32_e32 v5, v14, v5, vcc_lo
	v_cmp_ne_u32_e32 vcc_lo, 0, v2
	v_lshrrev_b32_e32 v11, 2, v11
	v_cmp_eq_u32_e64 s0, 3, v13
	s_delay_alu instid0(VALU_DEP_4)
	v_and_b32_e32 v14, 7, v5
	s_wait_alu 0xfffd
	v_cndmask_b32_e64 v2, 0, 1, vcc_lo
	v_cmp_ne_u32_e32 vcc_lo, 0, v9
	v_lshrrev_b32_e32 v5, 2, v5
	v_cmp_lt_i32_e64 s1, 5, v14
	v_cmp_eq_u32_e64 s2, 3, v14
	s_wait_alu 0xfffd
	v_cndmask_b32_e64 v9, 0, 1, vcc_lo
	v_cmp_lt_i32_e32 vcc_lo, 5, v13
	v_lshl_or_b32 v2, v2, 9, 0x7c00
	s_delay_alu instid0(VALU_DEP_3)
	v_lshl_or_b32 v9, v9, 9, 0x7c00
	s_or_b32 vcc_lo, s0, vcc_lo
	s_wait_alu 0xfffe
	v_add_co_ci_u32_e32 v11, vcc_lo, 0, v11, vcc_lo
	s_or_b32 vcc_lo, s2, s1
	s_wait_alu 0xfffe
	v_add_co_ci_u32_e32 v5, vcc_lo, 0, v5, vcc_lo
	v_cmp_gt_i32_e32 vcc_lo, 31, v7
	s_wait_alu 0xfffd
	v_cndmask_b32_e32 v11, 0x7c00, v11, vcc_lo
	v_cmp_gt_i32_e32 vcc_lo, 31, v12
	s_wait_alu 0xfffd
	v_cndmask_b32_e32 v5, 0x7c00, v5, vcc_lo
	v_cmp_eq_u32_e32 vcc_lo, 0x40f, v7
	v_lshrrev_b32_e32 v7, 16, v10
	s_wait_alu 0xfffd
	v_cndmask_b32_e32 v2, v11, v2, vcc_lo
	v_cmp_eq_u32_e32 vcc_lo, 0x40f, v12
	s_delay_alu instid0(VALU_DEP_2) | instskip(SKIP_2) | instid1(VALU_DEP_1)
	v_and_or_b32 v2, 0x8000, v8, v2
	s_wait_alu 0xfffd
	v_cndmask_b32_e32 v5, v5, v9, vcc_lo
	v_and_or_b32 v5, 0x8000, v7, v5
	s_delay_alu instid0(VALU_DEP_3) | instskip(SKIP_3) | instid1(VALU_DEP_3)
	v_and_b32_e32 v7, 0xffff, v2
	v_add_co_u32 v2, vcc_lo, v3, s6
	s_wait_alu 0xfffd
	v_add_co_ci_u32_e32 v3, vcc_lo, s7, v4, vcc_lo
	v_lshl_or_b32 v4, v5, 16, v7
	global_store_b32 v[2:3], v4, off
	global_load_b32 v2, v39, s[12:13] offset:2816
	v_lshrrev_b32_e32 v3, 16, v6
	s_wait_loadcnt 0x0
	v_lshrrev_b32_e32 v4, 16, v2
	s_delay_alu instid0(VALU_DEP_1) | instskip(SKIP_1) | instid1(VALU_DEP_2)
	v_mul_f16_e32 v5, v3, v4
	v_mul_f16_e32 v4, v6, v4
	v_fmac_f16_e32 v5, v6, v2
	s_delay_alu instid0(VALU_DEP_2) | instskip(NEXT) | instid1(VALU_DEP_2)
	v_fma_f16 v2, v2, v3, -v4
	v_cvt_f32_f16_e32 v3, v5
	s_delay_alu instid0(VALU_DEP_2) | instskip(NEXT) | instid1(VALU_DEP_2)
	v_cvt_f32_f16_e32 v4, v2
	v_cvt_f64_f32_e32 v[2:3], v3
	s_delay_alu instid0(VALU_DEP_2) | instskip(NEXT) | instid1(VALU_DEP_2)
	v_cvt_f64_f32_e32 v[4:5], v4
	v_mul_f64_e32 v[2:3], s[8:9], v[2:3]
	s_delay_alu instid0(VALU_DEP_2) | instskip(NEXT) | instid1(VALU_DEP_2)
	v_mul_f64_e32 v[4:5], s[8:9], v[4:5]
	v_and_or_b32 v2, 0x1ff, v3, v2
	s_delay_alu instid0(VALU_DEP_2)
	v_and_or_b32 v4, 0x1ff, v5, v4
	v_lshrrev_b32_e32 v6, 8, v3
	v_bfe_u32 v8, v3, 20, 11
	v_bfe_u32 v9, v5, 20, 11
	v_cmp_ne_u32_e32 vcc_lo, 0, v2
	v_lshrrev_b32_e32 v7, 8, v5
	v_lshrrev_b32_e32 v5, 16, v5
	v_sub_nc_u32_e32 v10, 0x3f1, v8
	v_sub_nc_u32_e32 v11, 0x3f1, v9
	s_wait_alu 0xfffd
	v_cndmask_b32_e64 v2, 0, 1, vcc_lo
	v_cmp_ne_u32_e32 vcc_lo, 0, v4
	v_add_nc_u32_e32 v9, 0xfffffc10, v9
	s_delay_alu instid0(VALU_DEP_3)
	v_and_or_b32 v12, 0xffe, v6, v2
	s_wait_alu 0xfffd
	v_cndmask_b32_e64 v4, 0, 1, vcc_lo
	v_med3_i32 v2, v10, 0, 13
	v_med3_i32 v10, v11, 0, 13
	v_or_b32_e32 v11, 0x1000, v12
	s_delay_alu instid0(VALU_DEP_4) | instskip(SKIP_1) | instid1(VALU_DEP_3)
	v_and_or_b32 v4, 0xffe, v7, v4
	v_mad_co_u64_u32 v[6:7], null, s4, v38, 0
	v_lshrrev_b32_e32 v14, v2, v11
	s_delay_alu instid0(VALU_DEP_3) | instskip(NEXT) | instid1(VALU_DEP_2)
	v_or_b32_e32 v13, 0x1000, v4
	v_lshlrev_b32_e32 v16, v2, v14
	s_delay_alu instid0(VALU_DEP_2) | instskip(SKIP_1) | instid1(VALU_DEP_3)
	v_lshrrev_b32_e32 v15, v10, v13
	v_mov_b32_e32 v2, v7
	v_cmp_ne_u32_e32 vcc_lo, v16, v11
	s_delay_alu instid0(VALU_DEP_3) | instskip(SKIP_3) | instid1(VALU_DEP_3)
	v_lshlrev_b32_e32 v7, v10, v15
	v_add_nc_u32_e32 v10, 0xfffffc10, v8
	s_wait_alu 0xfffd
	v_cndmask_b32_e64 v11, 0, 1, vcc_lo
	v_cmp_ne_u32_e32 vcc_lo, v7, v13
	v_mad_co_u64_u32 v[7:8], null, s5, v38, v[2:3]
	v_lshl_or_b32 v2, v10, 12, v12
	s_delay_alu instid0(VALU_DEP_4)
	v_or_b32_e32 v8, v14, v11
	s_wait_alu 0xfffd
	v_cndmask_b32_e64 v13, 0, 1, vcc_lo
	v_cmp_gt_i32_e32 vcc_lo, 1, v10
	v_lshl_or_b32 v11, v9, 12, v4
	v_lshrrev_b32_e32 v3, 16, v3
	s_delay_alu instid0(VALU_DEP_4)
	v_or_b32_e32 v13, v15, v13
	s_wait_alu 0xfffd
	v_cndmask_b32_e32 v2, v2, v8, vcc_lo
	v_cmp_gt_i32_e32 vcc_lo, 1, v9
	s_wait_alu 0xfffd
	v_cndmask_b32_e32 v8, v11, v13, vcc_lo
	v_cmp_ne_u32_e32 vcc_lo, 0, v12
	v_and_b32_e32 v12, 7, v2
	v_lshrrev_b32_e32 v2, 2, v2
	s_delay_alu instid0(VALU_DEP_4)
	v_and_b32_e32 v13, 7, v8
	s_wait_alu 0xfffd
	v_cndmask_b32_e64 v11, 0, 1, vcc_lo
	v_cmp_ne_u32_e32 vcc_lo, 0, v4
	v_cmp_eq_u32_e64 s0, 3, v12
	v_lshrrev_b32_e32 v8, 2, v8
	v_cmp_lt_i32_e64 s1, 5, v13
	v_cmp_eq_u32_e64 s2, 3, v13
	s_wait_alu 0xfffd
	v_cndmask_b32_e64 v4, 0, 1, vcc_lo
	v_cmp_lt_i32_e32 vcc_lo, 5, v12
	v_lshl_or_b32 v11, v11, 9, 0x7c00
	s_delay_alu instid0(VALU_DEP_3)
	v_lshl_or_b32 v4, v4, 9, 0x7c00
	s_or_b32 vcc_lo, s0, vcc_lo
	s_wait_alu 0xfffe
	v_add_co_ci_u32_e32 v2, vcc_lo, 0, v2, vcc_lo
	s_or_b32 vcc_lo, s2, s1
	s_wait_alu 0xfffe
	v_add_co_ci_u32_e32 v8, vcc_lo, 0, v8, vcc_lo
	v_cmp_gt_i32_e32 vcc_lo, 31, v10
	s_wait_alu 0xfffd
	v_cndmask_b32_e32 v2, 0x7c00, v2, vcc_lo
	v_cmp_gt_i32_e32 vcc_lo, 31, v9
	s_wait_alu 0xfffd
	v_cndmask_b32_e32 v8, 0x7c00, v8, vcc_lo
	v_cmp_eq_u32_e32 vcc_lo, 0x40f, v10
	s_wait_alu 0xfffd
	v_cndmask_b32_e32 v2, v2, v11, vcc_lo
	v_cmp_eq_u32_e32 vcc_lo, 0x40f, v9
	s_delay_alu instid0(VALU_DEP_2) | instskip(SKIP_2) | instid1(VALU_DEP_1)
	v_and_or_b32 v2, 0x8000, v3, v2
	s_wait_alu 0xfffd
	v_cndmask_b32_e32 v4, v8, v4, vcc_lo
	v_and_or_b32 v4, 0x8000, v5, v4
	s_delay_alu instid0(VALU_DEP_3) | instskip(SKIP_1) | instid1(VALU_DEP_2)
	v_and_b32_e32 v5, 0xffff, v2
	v_lshlrev_b64_e32 v[2:3], 2, v[6:7]
	v_lshl_or_b32 v4, v4, 16, v5
	s_delay_alu instid0(VALU_DEP_2) | instskip(SKIP_1) | instid1(VALU_DEP_3)
	v_add_co_u32 v0, vcc_lo, v0, v2
	s_wait_alu 0xfffd
	v_add_co_ci_u32_e32 v1, vcc_lo, v1, v3, vcc_lo
	global_store_b32 v[0:1], v4, off
.LBB0_23:
	s_nop 0
	s_sendmsg sendmsg(MSG_DEALLOC_VGPRS)
	s_endpgm
	.section	.rodata,"a",@progbits
	.p2align	6, 0x0
	.amdhsa_kernel bluestein_single_fwd_len748_dim1_half_op_CI_CI
		.amdhsa_group_segment_fixed_size 8976
		.amdhsa_private_segment_fixed_size 0
		.amdhsa_kernarg_size 104
		.amdhsa_user_sgpr_count 2
		.amdhsa_user_sgpr_dispatch_ptr 0
		.amdhsa_user_sgpr_queue_ptr 0
		.amdhsa_user_sgpr_kernarg_segment_ptr 1
		.amdhsa_user_sgpr_dispatch_id 0
		.amdhsa_user_sgpr_private_segment_size 0
		.amdhsa_wavefront_size32 1
		.amdhsa_uses_dynamic_stack 0
		.amdhsa_enable_private_segment 0
		.amdhsa_system_sgpr_workgroup_id_x 1
		.amdhsa_system_sgpr_workgroup_id_y 0
		.amdhsa_system_sgpr_workgroup_id_z 0
		.amdhsa_system_sgpr_workgroup_info 0
		.amdhsa_system_vgpr_workitem_id 0
		.amdhsa_next_free_vgpr 203
		.amdhsa_next_free_sgpr 16
		.amdhsa_reserve_vcc 1
		.amdhsa_float_round_mode_32 0
		.amdhsa_float_round_mode_16_64 0
		.amdhsa_float_denorm_mode_32 3
		.amdhsa_float_denorm_mode_16_64 3
		.amdhsa_fp16_overflow 0
		.amdhsa_workgroup_processor_mode 1
		.amdhsa_memory_ordered 1
		.amdhsa_forward_progress 0
		.amdhsa_round_robin_scheduling 0
		.amdhsa_exception_fp_ieee_invalid_op 0
		.amdhsa_exception_fp_denorm_src 0
		.amdhsa_exception_fp_ieee_div_zero 0
		.amdhsa_exception_fp_ieee_overflow 0
		.amdhsa_exception_fp_ieee_underflow 0
		.amdhsa_exception_fp_ieee_inexact 0
		.amdhsa_exception_int_div_zero 0
	.end_amdhsa_kernel
	.text
.Lfunc_end0:
	.size	bluestein_single_fwd_len748_dim1_half_op_CI_CI, .Lfunc_end0-bluestein_single_fwd_len748_dim1_half_op_CI_CI
                                        ; -- End function
	.section	.AMDGPU.csdata,"",@progbits
; Kernel info:
; codeLenInByte = 35980
; NumSgprs: 18
; NumVgprs: 203
; ScratchSize: 0
; MemoryBound: 0
; FloatMode: 240
; IeeeMode: 1
; LDSByteSize: 8976 bytes/workgroup (compile time only)
; SGPRBlocks: 2
; VGPRBlocks: 25
; NumSGPRsForWavesPerEU: 18
; NumVGPRsForWavesPerEU: 203
; Occupancy: 7
; WaveLimiterHint : 1
; COMPUTE_PGM_RSRC2:SCRATCH_EN: 0
; COMPUTE_PGM_RSRC2:USER_SGPR: 2
; COMPUTE_PGM_RSRC2:TRAP_HANDLER: 0
; COMPUTE_PGM_RSRC2:TGID_X_EN: 1
; COMPUTE_PGM_RSRC2:TGID_Y_EN: 0
; COMPUTE_PGM_RSRC2:TGID_Z_EN: 0
; COMPUTE_PGM_RSRC2:TIDIG_COMP_CNT: 0
	.text
	.p2alignl 7, 3214868480
	.fill 96, 4, 3214868480
	.type	__hip_cuid_15884ec083deb18,@object ; @__hip_cuid_15884ec083deb18
	.section	.bss,"aw",@nobits
	.globl	__hip_cuid_15884ec083deb18
__hip_cuid_15884ec083deb18:
	.byte	0                               ; 0x0
	.size	__hip_cuid_15884ec083deb18, 1

	.ident	"AMD clang version 19.0.0git (https://github.com/RadeonOpenCompute/llvm-project roc-6.4.0 25133 c7fe45cf4b819c5991fe208aaa96edf142730f1d)"
	.section	".note.GNU-stack","",@progbits
	.addrsig
	.addrsig_sym __hip_cuid_15884ec083deb18
	.amdgpu_metadata
---
amdhsa.kernels:
  - .args:
      - .actual_access:  read_only
        .address_space:  global
        .offset:         0
        .size:           8
        .value_kind:     global_buffer
      - .actual_access:  read_only
        .address_space:  global
        .offset:         8
        .size:           8
        .value_kind:     global_buffer
      - .actual_access:  read_only
        .address_space:  global
        .offset:         16
        .size:           8
        .value_kind:     global_buffer
      - .actual_access:  read_only
        .address_space:  global
        .offset:         24
        .size:           8
        .value_kind:     global_buffer
      - .actual_access:  read_only
        .address_space:  global
        .offset:         32
        .size:           8
        .value_kind:     global_buffer
      - .offset:         40
        .size:           8
        .value_kind:     by_value
      - .address_space:  global
        .offset:         48
        .size:           8
        .value_kind:     global_buffer
      - .address_space:  global
        .offset:         56
        .size:           8
        .value_kind:     global_buffer
      - .address_space:  global
        .offset:         64
        .size:           8
        .value_kind:     global_buffer
      - .address_space:  global
        .offset:         72
        .size:           8
        .value_kind:     global_buffer
      - .offset:         80
        .size:           4
        .value_kind:     by_value
      - .address_space:  global
        .offset:         88
        .size:           8
        .value_kind:     global_buffer
      - .address_space:  global
        .offset:         96
        .size:           8
        .value_kind:     global_buffer
    .group_segment_fixed_size: 8976
    .kernarg_segment_align: 8
    .kernarg_segment_size: 104
    .language:       OpenCL C
    .language_version:
      - 2
      - 0
    .max_flat_workgroup_size: 204
    .name:           bluestein_single_fwd_len748_dim1_half_op_CI_CI
    .private_segment_fixed_size: 0
    .sgpr_count:     18
    .sgpr_spill_count: 0
    .symbol:         bluestein_single_fwd_len748_dim1_half_op_CI_CI.kd
    .uniform_work_group_size: 1
    .uses_dynamic_stack: false
    .vgpr_count:     203
    .vgpr_spill_count: 0
    .wavefront_size: 32
    .workgroup_processor_mode: 1
amdhsa.target:   amdgcn-amd-amdhsa--gfx1201
amdhsa.version:
  - 1
  - 2
...

	.end_amdgpu_metadata
